;; amdgpu-corpus repo=ROCm/rocFFT kind=compiled arch=gfx906 opt=O3
	.text
	.amdgcn_target "amdgcn-amd-amdhsa--gfx906"
	.amdhsa_code_object_version 6
	.protected	fft_rtc_fwd_len884_factors_13_4_17_wgs_204_tpt_68_halfLds_dp_op_CI_CI_unitstride_sbrr_dirReg ; -- Begin function fft_rtc_fwd_len884_factors_13_4_17_wgs_204_tpt_68_halfLds_dp_op_CI_CI_unitstride_sbrr_dirReg
	.globl	fft_rtc_fwd_len884_factors_13_4_17_wgs_204_tpt_68_halfLds_dp_op_CI_CI_unitstride_sbrr_dirReg
	.p2align	8
	.type	fft_rtc_fwd_len884_factors_13_4_17_wgs_204_tpt_68_halfLds_dp_op_CI_CI_unitstride_sbrr_dirReg,@function
fft_rtc_fwd_len884_factors_13_4_17_wgs_204_tpt_68_halfLds_dp_op_CI_CI_unitstride_sbrr_dirReg: ; @fft_rtc_fwd_len884_factors_13_4_17_wgs_204_tpt_68_halfLds_dp_op_CI_CI_unitstride_sbrr_dirReg
; %bb.0:
	s_load_dwordx4 s[8:11], s[4:5], 0x58
	s_load_dwordx4 s[12:15], s[4:5], 0x0
	;; [unrolled: 1-line block ×3, first 2 shown]
	v_mul_u32_u24_e32 v1, 0x3c4, v0
	v_lshrrev_b32_e32 v1, 16, v1
	v_mad_u64_u32 v[16:17], s[0:1], s6, 3, v[1:2]
	v_mov_b32_e32 v1, 0
	v_mov_b32_e32 v4, 0
	;; [unrolled: 1-line block ×3, first 2 shown]
	s_waitcnt lgkmcnt(0)
	v_cmp_lt_u64_e64 s[0:1], s[14:15], 2
	v_mov_b32_e32 v5, 0
	v_mov_b32_e32 v97, v5
	;; [unrolled: 1-line block ×3, first 2 shown]
	s_and_b64 vcc, exec, s[0:1]
	v_mov_b32_e32 v96, v4
	v_mov_b32_e32 v99, v16
	s_cbranch_vccnz .LBB0_8
; %bb.1:
	s_load_dwordx2 s[0:1], s[4:5], 0x10
	s_add_u32 s2, s18, 8
	s_addc_u32 s3, s19, 0
	s_add_u32 s6, s16, 8
	v_mov_b32_e32 v4, 0
	s_addc_u32 s7, s17, 0
	v_mov_b32_e32 v5, 0
	s_waitcnt lgkmcnt(0)
	s_add_u32 s20, s0, 8
	v_mov_b32_e32 v97, v5
	v_mov_b32_e32 v6, v16
	s_addc_u32 s21, s1, 0
	s_mov_b64 s[22:23], 1
	v_mov_b32_e32 v96, v4
	v_mov_b32_e32 v7, v17
.LBB0_2:                                ; =>This Inner Loop Header: Depth=1
	s_load_dwordx2 s[24:25], s[20:21], 0x0
                                        ; implicit-def: $vgpr99_vgpr100
	s_waitcnt lgkmcnt(0)
	v_or_b32_e32 v2, s25, v7
	v_cmp_ne_u64_e32 vcc, 0, v[1:2]
	s_and_saveexec_b64 s[0:1], vcc
	s_xor_b64 s[26:27], exec, s[0:1]
	s_cbranch_execz .LBB0_4
; %bb.3:                                ;   in Loop: Header=BB0_2 Depth=1
	v_cvt_f32_u32_e32 v2, s24
	v_cvt_f32_u32_e32 v3, s25
	s_sub_u32 s0, 0, s24
	s_subb_u32 s1, 0, s25
	v_mac_f32_e32 v2, 0x4f800000, v3
	v_rcp_f32_e32 v2, v2
	v_mul_f32_e32 v2, 0x5f7ffffc, v2
	v_mul_f32_e32 v3, 0x2f800000, v2
	v_trunc_f32_e32 v3, v3
	v_mac_f32_e32 v2, 0xcf800000, v3
	v_cvt_u32_f32_e32 v3, v3
	v_cvt_u32_f32_e32 v2, v2
	v_mul_lo_u32 v8, s0, v3
	v_mul_hi_u32 v9, s0, v2
	v_mul_lo_u32 v11, s1, v2
	v_mul_lo_u32 v10, s0, v2
	v_add_u32_e32 v8, v9, v8
	v_add_u32_e32 v8, v8, v11
	v_mul_hi_u32 v9, v2, v10
	v_mul_lo_u32 v11, v2, v8
	v_mul_hi_u32 v13, v2, v8
	v_mul_hi_u32 v12, v3, v10
	v_mul_lo_u32 v10, v3, v10
	v_mul_hi_u32 v14, v3, v8
	v_add_co_u32_e32 v9, vcc, v9, v11
	v_addc_co_u32_e32 v11, vcc, 0, v13, vcc
	v_mul_lo_u32 v8, v3, v8
	v_add_co_u32_e32 v9, vcc, v9, v10
	v_addc_co_u32_e32 v9, vcc, v11, v12, vcc
	v_addc_co_u32_e32 v10, vcc, 0, v14, vcc
	v_add_co_u32_e32 v8, vcc, v9, v8
	v_addc_co_u32_e32 v9, vcc, 0, v10, vcc
	v_add_co_u32_e32 v2, vcc, v2, v8
	v_addc_co_u32_e32 v3, vcc, v3, v9, vcc
	v_mul_lo_u32 v8, s0, v3
	v_mul_hi_u32 v9, s0, v2
	v_mul_lo_u32 v10, s1, v2
	v_mul_lo_u32 v11, s0, v2
	v_add_u32_e32 v8, v9, v8
	v_add_u32_e32 v8, v8, v10
	v_mul_lo_u32 v12, v2, v8
	v_mul_hi_u32 v13, v2, v11
	v_mul_hi_u32 v14, v2, v8
	;; [unrolled: 1-line block ×3, first 2 shown]
	v_mul_lo_u32 v11, v3, v11
	v_mul_hi_u32 v9, v3, v8
	v_add_co_u32_e32 v12, vcc, v13, v12
	v_addc_co_u32_e32 v13, vcc, 0, v14, vcc
	v_mul_lo_u32 v8, v3, v8
	v_add_co_u32_e32 v11, vcc, v12, v11
	v_addc_co_u32_e32 v10, vcc, v13, v10, vcc
	v_addc_co_u32_e32 v9, vcc, 0, v9, vcc
	v_add_co_u32_e32 v8, vcc, v10, v8
	v_addc_co_u32_e32 v9, vcc, 0, v9, vcc
	v_add_co_u32_e32 v8, vcc, v2, v8
	v_addc_co_u32_e32 v9, vcc, v3, v9, vcc
	v_mad_u64_u32 v[2:3], s[0:1], v6, v9, 0
	v_mul_hi_u32 v10, v6, v8
	v_add_co_u32_e32 v10, vcc, v10, v2
	v_addc_co_u32_e32 v11, vcc, 0, v3, vcc
	v_mad_u64_u32 v[2:3], s[0:1], v7, v8, 0
	v_mad_u64_u32 v[8:9], s[0:1], v7, v9, 0
	v_add_co_u32_e32 v2, vcc, v10, v2
	v_addc_co_u32_e32 v2, vcc, v11, v3, vcc
	v_addc_co_u32_e32 v3, vcc, 0, v9, vcc
	v_add_co_u32_e32 v8, vcc, v2, v8
	v_addc_co_u32_e32 v9, vcc, 0, v3, vcc
	v_mul_lo_u32 v10, s25, v8
	v_mul_lo_u32 v11, s24, v9
	v_mad_u64_u32 v[2:3], s[0:1], s24, v8, 0
	v_add3_u32 v3, v3, v11, v10
	v_sub_u32_e32 v10, v7, v3
	v_mov_b32_e32 v11, s25
	v_sub_co_u32_e32 v2, vcc, v6, v2
	v_subb_co_u32_e64 v10, s[0:1], v10, v11, vcc
	v_subrev_co_u32_e64 v11, s[0:1], s24, v2
	v_subbrev_co_u32_e64 v10, s[0:1], 0, v10, s[0:1]
	v_cmp_le_u32_e64 s[0:1], s25, v10
	v_cndmask_b32_e64 v12, 0, -1, s[0:1]
	v_cmp_le_u32_e64 s[0:1], s24, v11
	v_cndmask_b32_e64 v11, 0, -1, s[0:1]
	v_cmp_eq_u32_e64 s[0:1], s25, v10
	v_cndmask_b32_e64 v10, v12, v11, s[0:1]
	v_add_co_u32_e64 v11, s[0:1], 2, v8
	v_addc_co_u32_e64 v12, s[0:1], 0, v9, s[0:1]
	v_add_co_u32_e64 v13, s[0:1], 1, v8
	v_addc_co_u32_e64 v14, s[0:1], 0, v9, s[0:1]
	v_subb_co_u32_e32 v3, vcc, v7, v3, vcc
	v_cmp_ne_u32_e64 s[0:1], 0, v10
	v_cmp_le_u32_e32 vcc, s25, v3
	v_cndmask_b32_e64 v10, v14, v12, s[0:1]
	v_cndmask_b32_e64 v12, 0, -1, vcc
	v_cmp_le_u32_e32 vcc, s24, v2
	v_cndmask_b32_e64 v2, 0, -1, vcc
	v_cmp_eq_u32_e32 vcc, s25, v3
	v_cndmask_b32_e32 v2, v12, v2, vcc
	v_cmp_ne_u32_e32 vcc, 0, v2
	v_cndmask_b32_e64 v2, v13, v11, s[0:1]
	v_cndmask_b32_e32 v100, v9, v10, vcc
	v_cndmask_b32_e32 v99, v8, v2, vcc
.LBB0_4:                                ;   in Loop: Header=BB0_2 Depth=1
	s_andn2_saveexec_b64 s[0:1], s[26:27]
	s_cbranch_execz .LBB0_6
; %bb.5:                                ;   in Loop: Header=BB0_2 Depth=1
	v_cvt_f32_u32_e32 v2, s24
	s_sub_i32 s26, 0, s24
	v_mov_b32_e32 v100, v1
	v_rcp_iflag_f32_e32 v2, v2
	v_mul_f32_e32 v2, 0x4f7ffffe, v2
	v_cvt_u32_f32_e32 v2, v2
	v_mul_lo_u32 v3, s26, v2
	v_mul_hi_u32 v3, v2, v3
	v_add_u32_e32 v2, v2, v3
	v_mul_hi_u32 v2, v6, v2
	v_mul_lo_u32 v3, v2, s24
	v_add_u32_e32 v8, 1, v2
	v_sub_u32_e32 v3, v6, v3
	v_subrev_u32_e32 v9, s24, v3
	v_cmp_le_u32_e32 vcc, s24, v3
	v_cndmask_b32_e32 v3, v3, v9, vcc
	v_cndmask_b32_e32 v2, v2, v8, vcc
	v_add_u32_e32 v8, 1, v2
	v_cmp_le_u32_e32 vcc, s24, v3
	v_cndmask_b32_e32 v99, v2, v8, vcc
.LBB0_6:                                ;   in Loop: Header=BB0_2 Depth=1
	s_or_b64 exec, exec, s[0:1]
	v_mul_lo_u32 v8, v100, s24
	v_mul_lo_u32 v9, v99, s25
	v_mad_u64_u32 v[2:3], s[0:1], v99, s24, 0
	s_load_dwordx2 s[0:1], s[6:7], 0x0
	s_load_dwordx2 s[24:25], s[2:3], 0x0
	v_add3_u32 v3, v3, v9, v8
	v_sub_co_u32_e32 v2, vcc, v6, v2
	v_subb_co_u32_e32 v3, vcc, v7, v3, vcc
	s_waitcnt lgkmcnt(0)
	v_mul_lo_u32 v6, s0, v3
	v_mul_lo_u32 v7, s1, v2
	v_mad_u64_u32 v[4:5], s[0:1], s0, v2, v[4:5]
	v_mul_lo_u32 v3, s24, v3
	v_mul_lo_u32 v8, s25, v2
	v_mad_u64_u32 v[96:97], s[0:1], s24, v2, v[96:97]
	s_add_u32 s22, s22, 1
	s_addc_u32 s23, s23, 0
	s_add_u32 s2, s2, 8
	v_add3_u32 v97, v8, v97, v3
	s_addc_u32 s3, s3, 0
	v_mov_b32_e32 v2, s14
	s_add_u32 s6, s6, 8
	v_mov_b32_e32 v3, s15
	s_addc_u32 s7, s7, 0
	v_cmp_ge_u64_e32 vcc, s[22:23], v[2:3]
	s_add_u32 s20, s20, 8
	v_add3_u32 v5, v7, v5, v6
	s_addc_u32 s21, s21, 0
	s_cbranch_vccnz .LBB0_8
; %bb.7:                                ;   in Loop: Header=BB0_2 Depth=1
	v_mov_b32_e32 v6, v99
	v_mov_b32_e32 v7, v100
	s_branch .LBB0_2
.LBB0_8:
	s_load_dwordx2 s[4:5], s[4:5], 0x28
	s_lshl_b64 s[6:7], s[14:15], 3
	s_add_u32 s2, s18, s6
	s_addc_u32 s3, s19, s7
                                        ; implicit-def: $vgpr98
	s_waitcnt lgkmcnt(0)
	v_cmp_gt_u64_e64 s[0:1], s[4:5], v[99:100]
	v_cmp_le_u64_e32 vcc, s[4:5], v[99:100]
	s_and_saveexec_b64 s[4:5], vcc
	s_xor_b64 s[4:5], exec, s[4:5]
; %bb.9:
	s_mov_b32 s14, 0x3c3c3c4
	v_mul_hi_u32 v1, v0, s14
                                        ; implicit-def: $vgpr4_vgpr5
	v_mul_u32_u24_e32 v1, 0x44, v1
	v_sub_u32_e32 v98, v0, v1
                                        ; implicit-def: $vgpr0
; %bb.10:
	s_or_saveexec_b64 s[4:5], s[4:5]
                                        ; implicit-def: $vgpr52_vgpr53
                                        ; implicit-def: $vgpr42_vgpr43
                                        ; implicit-def: $vgpr10_vgpr11
                                        ; implicit-def: $vgpr2_vgpr3
                                        ; implicit-def: $vgpr22_vgpr23
                                        ; implicit-def: $vgpr56_vgpr57
                                        ; implicit-def: $vgpr68_vgpr69
                                        ; implicit-def: $vgpr60_vgpr61
                                        ; implicit-def: $vgpr14_vgpr15
                                        ; implicit-def: $vgpr6_vgpr7
                                        ; implicit-def: $vgpr26_vgpr27
                                        ; implicit-def: $vgpr30_vgpr31
                                        ; implicit-def: $vgpr48_vgpr49
	s_xor_b64 exec, exec, s[4:5]
	s_cbranch_execz .LBB0_12
; %bb.11:
	s_add_u32 s6, s16, s6
	s_addc_u32 s7, s17, s7
	s_load_dwordx2 s[6:7], s[6:7], 0x0
	s_mov_b32 s14, 0x3c3c3c4
	v_mul_hi_u32 v3, v0, s14
	s_waitcnt lgkmcnt(0)
	v_mul_lo_u32 v6, s7, v99
	v_mul_lo_u32 v7, s6, v100
	v_mad_u64_u32 v[1:2], s[6:7], s6, v99, 0
	v_mul_u32_u24_e32 v3, 0x44, v3
	v_sub_u32_e32 v98, v0, v3
	v_add3_u32 v2, v2, v7, v6
	v_lshlrev_b64 v[0:1], 4, v[1:2]
	v_mov_b32_e32 v2, s9
	v_add_co_u32_e32 v3, vcc, s8, v0
	v_addc_co_u32_e32 v2, vcc, v2, v1, vcc
	v_lshlrev_b64 v[0:1], 4, v[4:5]
	s_movk_i32 s6, 0x1000
	v_add_co_u32_e32 v0, vcc, v3, v0
	v_addc_co_u32_e32 v1, vcc, v2, v1, vcc
	v_lshlrev_b32_e32 v2, 4, v98
	v_add_co_u32_e32 v0, vcc, v0, v2
	v_addc_co_u32_e32 v1, vcc, 0, v1, vcc
	v_add_co_u32_e32 v17, vcc, s6, v0
	v_addc_co_u32_e32 v18, vcc, 0, v1, vcc
	s_movk_i32 s6, 0x2000
	v_add_co_u32_e32 v32, vcc, s6, v0
	v_addc_co_u32_e32 v33, vcc, 0, v1, vcc
	v_add_co_u32_e32 v34, vcc, 0x3000, v0
	global_load_dwordx4 v[46:49], v[0:1], off
	global_load_dwordx4 v[50:53], v[0:1], off offset:1088
	global_load_dwordx4 v[40:43], v[0:1], off offset:2176
	global_load_dwordx4 v[28:31], v[0:1], off offset:3264
	v_addc_co_u32_e32 v35, vcc, 0, v1, vcc
	global_load_dwordx4 v[24:27], v[17:18], off offset:256
	global_load_dwordx4 v[8:11], v[17:18], off offset:1344
	;; [unrolled: 1-line block ×9, first 2 shown]
.LBB0_12:
	s_or_b64 exec, exec, s[4:5]
	s_waitcnt vmcnt(11)
	v_add_f64 v[17:18], v[50:51], v[46:47]
	s_mov_b32 s22, 0xaaaaaaab
	v_mul_hi_u32 v19, v16, s22
	s_waitcnt vmcnt(0)
	v_add_f64 v[32:33], v[50:51], v[66:67]
	s_load_dwordx2 s[4:5], s[2:3], 0x0
	s_mov_b32 s8, 0xe00740e9
	v_lshrrev_b32_e32 v19, 1, v19
	v_lshl_add_u32 v19, v19, 1, v19
	v_add_f64 v[17:18], v[40:41], v[17:18]
	v_sub_u32_e32 v16, v16, v19
	v_mul_u32_u24_e32 v103, 0x374, v16
	s_mov_b32 s14, 0x1ea71119
	s_mov_b32 s2, 0xebaa3ed8
	;; [unrolled: 1-line block ×5, first 2 shown]
	v_add_f64 v[17:18], v[28:29], v[17:18]
	s_mov_b32 s9, 0x3fec55a7
	s_mov_b32 s15, 0x3fe22d96
	;; [unrolled: 1-line block ×6, first 2 shown]
	v_add_f64 v[34:35], v[52:53], -v[68:69]
	v_add_f64 v[17:18], v[24:25], v[17:18]
	v_add_f64 v[36:37], v[40:41], v[58:59]
	v_mul_f64 v[44:45], v[32:33], s[8:9]
	v_mul_f64 v[62:63], v[32:33], s[14:15]
	;; [unrolled: 1-line block ×4, first 2 shown]
	s_mov_b32 s20, 0x4267c47c
	s_mov_b32 s16, 0x42a4c3d2
	v_add_f64 v[17:18], v[8:9], v[17:18]
	s_mov_b32 s6, 0x66966769
	s_mov_b32 s42, 0x2ef20147
	s_mov_b32 s40, 0x24c2f84
	s_mov_b32 s36, 0x4bc48dbf
	s_mov_b32 s21, 0x3fddbe06
	s_mov_b32 s45, 0xbfddbe06
	s_mov_b32 s17, 0x3fea55e2
	v_add_f64 v[17:18], v[0:1], v[17:18]
	s_mov_b32 s35, 0xbfea55e2
	s_mov_b32 s7, 0x3fefc445
	s_mov_b32 s39, 0xbfefc445
	s_mov_b32 s43, 0x3fedeba7
	s_mov_b32 s23, 0xbfedeba7
	;; [unrolled: 8-line block ×3, first 2 shown]
	s_mov_b32 s22, s42
	s_mov_b32 s26, s40
	v_add_f64 v[16:17], v[12:13], v[17:18]
	v_mul_f64 v[18:19], v[32:33], s[2:3]
	v_mul_f64 v[32:33], v[32:33], s[28:29]
	s_mov_b32 s30, s36
	v_add_f64 v[38:39], v[42:43], -v[60:61]
	v_mul_f64 v[72:73], v[36:37], s[14:15]
	v_mul_f64 v[74:75], v[36:37], s[18:19]
	v_fma_f64 v[76:77], v[34:35], s[20:21], v[44:45]
	v_add_f64 v[16:17], v[20:21], v[16:17]
	v_fma_f64 v[44:45], v[34:35], s[44:45], v[44:45]
	v_fma_f64 v[78:79], v[34:35], s[16:17], v[62:63]
	;; [unrolled: 1-line block ×7, first 2 shown]
	v_add_f64 v[16:17], v[54:55], v[16:17]
	v_fma_f64 v[84:85], v[34:35], s[40:41], v[70:71]
	v_fma_f64 v[70:71], v[34:35], s[26:27], v[70:71]
	;; [unrolled: 1-line block ×5, first 2 shown]
	v_add_f64 v[76:77], v[76:77], v[46:47]
	v_add_f64 v[44:45], v[44:45], v[46:47]
	v_add_f64 v[16:17], v[58:59], v[16:17]
	v_add_f64 v[78:79], v[78:79], v[46:47]
	v_add_f64 v[62:63], v[62:63], v[46:47]
	v_add_f64 v[80:81], v[80:81], v[46:47]
	v_add_f64 v[18:19], v[18:19], v[46:47]
	v_add_f64 v[82:83], v[82:83], v[46:47]
	v_add_f64 v[64:65], v[64:65], v[46:47]
	v_add_f64 v[84:85], v[84:85], v[46:47]
	v_add_f64 v[88:89], v[66:67], v[16:17]
	v_add_f64 v[16:17], v[70:71], v[46:47]
	v_mul_f64 v[70:71], v[36:37], s[28:29]
	v_fma_f64 v[72:73], v[38:39], s[34:35], v[72:73]
	v_fma_f64 v[90:91], v[38:39], s[42:43], v[74:75]
	v_add_f64 v[86:87], v[86:87], v[46:47]
	v_add_f64 v[32:33], v[32:33], v[46:47]
	v_fma_f64 v[46:47], v[38:39], s[22:23], v[74:75]
	v_mul_f64 v[74:75], v[36:37], s[24:25]
	v_add_f64 v[34:35], v[34:35], v[76:77]
	v_fma_f64 v[76:77], v[38:39], s[36:37], v[70:71]
	v_add_f64 v[44:45], v[72:73], v[44:45]
	v_add_f64 v[72:73], v[90:91], v[78:79]
	v_fma_f64 v[70:71], v[38:39], s[30:31], v[70:71]
	v_mul_f64 v[78:79], v[36:37], s[2:3]
	v_add_f64 v[46:47], v[46:47], v[62:63]
	v_add_f64 v[62:63], v[54:55], v[28:29]
	v_fma_f64 v[90:91], v[38:39], s[26:27], v[74:75]
	v_fma_f64 v[74:75], v[38:39], s[40:41], v[74:75]
	v_mul_f64 v[36:37], v[36:37], s[8:9]
	v_add_f64 v[76:77], v[76:77], v[80:81]
	v_add_f64 v[18:19], v[70:71], v[18:19]
	v_fma_f64 v[70:71], v[38:39], s[38:39], v[78:79]
	v_add_f64 v[80:81], v[30:31], -v[56:57]
	v_mul_f64 v[92:93], v[62:63], s[2:3]
	v_add_f64 v[82:83], v[90:91], v[82:83]
	v_fma_f64 v[78:79], v[38:39], s[6:7], v[78:79]
	v_add_f64 v[64:65], v[74:75], v[64:65]
	v_fma_f64 v[74:75], v[38:39], s[44:45], v[36:37]
	v_mul_f64 v[90:91], v[62:63], s[28:29]
	v_fma_f64 v[36:37], v[38:39], s[20:21], v[36:37]
	v_add_f64 v[38:39], v[70:71], v[84:85]
	v_fma_f64 v[70:71], v[80:81], s[6:7], v[92:93]
	v_mul_f64 v[84:85], v[62:63], s[18:19]
	v_add_f64 v[16:17], v[78:79], v[16:17]
	v_fma_f64 v[78:79], v[80:81], s[38:39], v[92:93]
	v_add_f64 v[74:75], v[74:75], v[86:87]
	v_fma_f64 v[86:87], v[80:81], s[36:37], v[90:91]
	;; [unrolled: 2-line block ×4, first 2 shown]
	v_mul_f64 v[90:91], v[62:63], s[8:9]
	v_add_f64 v[44:45], v[78:79], v[44:45]
	v_fma_f64 v[78:79], v[80:81], s[42:43], v[84:85]
	v_mul_f64 v[84:85], v[62:63], s[14:15]
	v_add_f64 v[72:73], v[86:87], v[72:73]
	v_add_f64 v[36:37], v[36:37], v[46:47]
	;; [unrolled: 1-line block ×4, first 2 shown]
	v_fma_f64 v[76:77], v[80:81], s[44:45], v[90:91]
	v_fma_f64 v[86:87], v[80:81], s[20:21], v[90:91]
	v_mul_f64 v[62:63], v[62:63], s[24:25]
	v_add_f64 v[18:19], v[78:79], v[18:19]
	v_fma_f64 v[78:79], v[80:81], s[16:17], v[84:85]
	v_add_f64 v[90:91], v[26:27], -v[22:23]
	v_mul_f64 v[92:93], v[46:47], s[18:19]
	v_fma_f64 v[84:85], v[80:81], s[34:35], v[84:85]
	v_add_f64 v[76:77], v[76:77], v[82:83]
	v_add_f64 v[64:65], v[86:87], v[64:65]
	v_mul_f64 v[82:83], v[46:47], s[24:25]
	v_fma_f64 v[86:87], v[80:81], s[40:41], v[62:63]
	v_fma_f64 v[62:63], v[80:81], s[26:27], v[62:63]
	v_add_f64 v[38:39], v[78:79], v[38:39]
	v_fma_f64 v[78:79], v[90:91], s[42:43], v[92:93]
	v_add_f64 v[16:17], v[84:85], v[16:17]
	v_mul_f64 v[80:81], v[46:47], s[8:9]
	v_fma_f64 v[84:85], v[90:91], s[22:23], v[92:93]
	v_fma_f64 v[92:93], v[90:91], s[26:27], v[82:83]
	v_add_f64 v[74:75], v[86:87], v[74:75]
	v_add_f64 v[32:33], v[62:63], v[32:33]
	v_fma_f64 v[62:63], v[90:91], s[40:41], v[82:83]
	v_add_f64 v[34:35], v[78:79], v[34:35]
	v_mul_f64 v[78:79], v[46:47], s[2:3]
	v_fma_f64 v[82:83], v[90:91], s[44:45], v[80:81]
	v_add_f64 v[44:45], v[84:85], v[44:45]
	v_fma_f64 v[80:81], v[90:91], s[20:21], v[80:81]
	v_mul_f64 v[84:85], v[46:47], s[28:29]
	v_mul_f64 v[46:47], v[46:47], s[14:15]
	v_add_f64 v[36:37], v[62:63], v[36:37]
	v_add_f64 v[62:63], v[8:9], v[12:13]
	v_fma_f64 v[86:87], v[90:91], s[6:7], v[78:79]
	v_fma_f64 v[78:79], v[90:91], s[38:39], v[78:79]
	v_add_f64 v[72:73], v[92:93], v[72:73]
	v_add_f64 v[70:71], v[82:83], v[70:71]
	v_add_f64 v[18:19], v[80:81], v[18:19]
	v_fma_f64 v[80:81], v[90:91], s[30:31], v[84:85]
	v_add_f64 v[82:83], v[10:11], -v[14:15]
	v_mul_f64 v[92:93], v[62:63], s[24:25]
	v_add_f64 v[76:77], v[86:87], v[76:77]
	v_fma_f64 v[84:85], v[90:91], s[36:37], v[84:85]
	v_add_f64 v[64:65], v[78:79], v[64:65]
	v_fma_f64 v[78:79], v[90:91], s[34:35], v[46:47]
	v_mul_f64 v[86:87], v[62:63], s[2:3]
	v_fma_f64 v[46:47], v[90:91], s[16:17], v[46:47]
	v_add_f64 v[38:39], v[80:81], v[38:39]
	v_fma_f64 v[80:81], v[82:83], s[40:41], v[92:93]
	v_mul_f64 v[90:91], v[62:63], s[14:15]
	v_add_f64 v[16:17], v[84:85], v[16:17]
	v_fma_f64 v[84:85], v[82:83], s[26:27], v[92:93]
	v_add_f64 v[74:75], v[78:79], v[74:75]
	v_fma_f64 v[78:79], v[82:83], s[38:39], v[86:87]
	;; [unrolled: 2-line block ×4, first 2 shown]
	v_mul_f64 v[86:87], v[62:63], s[28:29]
	v_add_f64 v[44:45], v[84:85], v[44:45]
	v_fma_f64 v[84:85], v[82:83], s[34:35], v[90:91]
	v_add_f64 v[72:73], v[78:79], v[72:73]
	v_mul_f64 v[78:79], v[62:63], s[8:9]
	v_add_f64 v[36:37], v[46:47], v[36:37]
	v_add_f64 v[46:47], v[0:1], v[4:5]
	;; [unrolled: 1-line block ×3, first 2 shown]
	v_fma_f64 v[80:81], v[82:83], s[30:31], v[86:87]
	v_mul_f64 v[62:63], v[62:63], s[18:19]
	v_add_f64 v[18:19], v[84:85], v[18:19]
	v_fma_f64 v[84:85], v[82:83], s[36:37], v[86:87]
	v_fma_f64 v[86:87], v[82:83], s[44:45], v[78:79]
	v_add_f64 v[90:91], v[2:3], -v[6:7]
	v_mul_f64 v[92:93], v[46:47], s[28:29]
	v_fma_f64 v[78:79], v[82:83], s[20:21], v[78:79]
	v_add_f64 v[76:77], v[80:81], v[76:77]
	v_fma_f64 v[80:81], v[82:83], s[42:43], v[62:63]
	v_fma_f64 v[62:63], v[82:83], s[22:23], v[62:63]
	v_mul_f64 v[82:83], v[46:47], s[8:9]
	v_add_f64 v[64:65], v[84:85], v[64:65]
	v_add_f64 v[38:39], v[86:87], v[38:39]
	v_fma_f64 v[84:85], v[90:91], s[36:37], v[92:93]
	v_add_f64 v[78:79], v[78:79], v[16:17]
	v_fma_f64 v[16:17], v[90:91], s[30:31], v[92:93]
	v_add_f64 v[74:75], v[80:81], v[74:75]
	v_add_f64 v[32:33], v[62:63], v[32:33]
	v_fma_f64 v[62:63], v[90:91], s[44:45], v[82:83]
	v_fma_f64 v[80:81], v[90:91], s[20:21], v[82:83]
	v_mul_f64 v[82:83], v[46:47], s[24:25]
	v_add_f64 v[34:35], v[84:85], v[34:35]
	v_mul_f64 v[84:85], v[46:47], s[14:15]
	v_add_f64 v[16:17], v[16:17], v[44:45]
	v_mul_f64 v[44:45], v[46:47], s[18:19]
	v_mul_f64 v[46:47], v[46:47], s[2:3]
	v_add_f64 v[62:63], v[62:63], v[72:73]
	v_add_f64 v[36:37], v[80:81], v[36:37]
	v_fma_f64 v[72:73], v[90:91], s[40:41], v[82:83]
	v_fma_f64 v[80:81], v[90:91], s[26:27], v[82:83]
	;; [unrolled: 1-line block ×8, first 2 shown]
	v_add_f64 v[70:71], v[72:73], v[70:71]
	s_movk_i32 s33, 0x68
	v_add_f64 v[72:73], v[82:83], v[76:77]
	v_add_f64 v[64:65], v[84:85], v[64:65]
	;; [unrolled: 1-line block ×6, first 2 shown]
	v_lshl_add_u32 v46, v103, 3, 0
	v_add_f64 v[18:19], v[80:81], v[18:19]
	v_mad_u32_u24 v80, v98, s33, v46
	s_movk_i32 s33, 0xffa0
	v_mad_i32_i24 v109, v98, s33, v80
	v_add_u32_e32 v81, 0x400, v109
	v_add_u32_e32 v82, 0x800, v109
	;; [unrolled: 1-line block ×4, first 2 shown]
	ds_write2_b64 v80, v[88:89], v[34:35] offset1:1
	ds_write2_b64 v80, v[62:63], v[70:71] offset0:2 offset1:3
	ds_write2_b64 v80, v[72:73], v[38:39] offset0:4 offset1:5
	;; [unrolled: 1-line block ×5, first 2 shown]
	ds_write_b64 v80, v[16:17] offset:96
	s_waitcnt lgkmcnt(0)
	s_barrier
	v_lshl_add_u32 v110, v98, 3, v46
	ds_read2_b64 v[70:73], v81 offset0:93 offset1:161
	ds_read2_b64 v[32:35], v82 offset0:101 offset1:186
	;; [unrolled: 1-line block ×5, first 2 shown]
	ds_read_b64 v[94:95], v110
	ds_read_b64 v[101:102], v109 offset:6392
	v_cmp_gt_u32_e32 vcc, 17, v98
                                        ; implicit-def: $vgpr44_vgpr45
	s_and_saveexec_b64 s[46:47], vcc
	s_cbranch_execz .LBB0_14
; %bb.13:
	v_add_u32_e32 v16, 0x600, v109
	v_add_u32_e32 v44, 0x1400, v109
	ds_read2_b64 v[16:19], v16 offset0:12 offset1:233
	ds_read2_b64 v[44:47], v44 offset0:6 offset1:227
.LBB0_14:
	s_or_b64 exec, exec, s[46:47]
	v_add_f64 v[78:79], v[52:53], v[48:49]
	v_add_f64 v[50:51], v[50:51], -v[66:67]
	v_add_f64 v[52:53], v[52:53], v[68:69]
	v_add_f64 v[40:41], v[40:41], -v[58:59]
	v_add_f64 v[28:29], v[28:29], -v[54:55]
	;; [unrolled: 1-line block ×5, first 2 shown]
	v_add_f64 v[78:79], v[42:43], v[78:79]
	v_mul_f64 v[66:67], v[50:51], s[44:45]
	v_mul_f64 v[85:86], v[50:51], s[34:35]
	;; [unrolled: 1-line block ×6, first 2 shown]
	v_add_f64 v[42:43], v[42:43], v[60:61]
	v_add_f64 v[78:79], v[30:31], v[78:79]
	v_mul_f64 v[58:59], v[40:41], s[22:23]
	v_fma_f64 v[87:88], v[52:53], s[14:15], v[85:86]
	v_fma_f64 v[85:86], v[52:53], s[14:15], -v[85:86]
	v_fma_f64 v[91:92], v[52:53], s[2:3], v[89:90]
	v_fma_f64 v[89:90], v[52:53], s[2:3], -v[89:90]
	;; [unrolled: 2-line block ×3, first 2 shown]
	v_add_f64 v[78:79], v[26:27], v[78:79]
	v_fma_f64 v[113:114], v[52:53], s[24:25], v[111:112]
	v_fma_f64 v[111:112], v[52:53], s[24:25], -v[111:112]
	v_fma_f64 v[115:116], v[52:53], s[28:29], v[50:51]
	v_fma_f64 v[50:51], v[52:53], s[28:29], -v[50:51]
	v_add_f64 v[87:88], v[87:88], v[48:49]
	v_add_f64 v[85:86], v[85:86], v[48:49]
	;; [unrolled: 1-line block ×12, first 2 shown]
	v_mul_f64 v[54:55], v[28:29], s[42:43]
	v_mul_f64 v[24:25], v[20:21], s[22:23]
	v_add_f64 v[10:11], v[10:11], v[14:15]
	v_mul_f64 v[12:13], v[8:9], s[26:27]
	v_add_f64 v[2:3], v[2:3], v[6:7]
	v_mul_f64 v[4:5], v[0:1], s[30:31]
	s_waitcnt lgkmcnt(0)
	v_add_f64 v[78:79], v[6:7], v[78:79]
	s_barrier
	v_fma_f64 v[6:7], v[2:3], s[28:29], v[4:5]
	v_fma_f64 v[4:5], v[2:3], s[28:29], -v[4:5]
	v_add_f64 v[78:79], v[14:15], v[78:79]
	v_fma_f64 v[14:15], v[10:11], s[24:25], v[12:13]
	v_fma_f64 v[12:13], v[10:11], s[24:25], -v[12:13]
	v_add_f64 v[78:79], v[22:23], v[78:79]
	v_add_f64 v[22:23], v[22:23], v[26:27]
	;; [unrolled: 1-line block ×3, first 2 shown]
	v_fma_f64 v[56:57], v[30:31], s[18:19], v[54:55]
	v_fma_f64 v[54:55], v[30:31], s[18:19], -v[54:55]
	v_fma_f64 v[26:27], v[22:23], s[18:19], v[24:25]
	v_fma_f64 v[24:25], v[22:23], s[18:19], -v[24:25]
	v_add_f64 v[78:79], v[60:61], v[78:79]
	v_fma_f64 v[60:61], v[42:43], s[18:19], v[58:59]
	v_fma_f64 v[58:59], v[42:43], s[18:19], -v[58:59]
	v_add_f64 v[78:79], v[68:69], v[78:79]
	;; [unrolled: 3-line block ×3, first 2 shown]
	v_mul_f64 v[85:86], v[40:41], s[40:41]
	v_add_f64 v[60:61], v[60:61], v[87:88]
	v_add_f64 v[68:69], v[68:69], v[48:49]
	;; [unrolled: 1-line block ×4, first 2 shown]
	v_mul_f64 v[50:51], v[40:41], s[34:35]
	v_fma_f64 v[87:88], v[42:43], s[24:25], v[85:86]
	v_fma_f64 v[85:86], v[42:43], s[24:25], -v[85:86]
	v_fma_f64 v[52:53], v[42:43], s[14:15], v[50:51]
	v_fma_f64 v[50:51], v[42:43], s[14:15], -v[50:51]
	v_add_f64 v[85:86], v[85:86], v[104:105]
	v_add_f64 v[87:88], v[87:88], v[106:107]
	;; [unrolled: 1-line block ×4, first 2 shown]
	v_mul_f64 v[66:67], v[40:41], s[30:31]
	v_fma_f64 v[68:69], v[42:43], s[28:29], v[66:67]
	v_fma_f64 v[66:67], v[42:43], s[28:29], -v[66:67]
	v_add_f64 v[68:69], v[68:69], v[91:92]
	v_add_f64 v[66:67], v[66:67], v[89:90]
	v_mul_f64 v[89:90], v[40:41], s[6:7]
	v_mul_f64 v[40:41], v[40:41], s[20:21]
	v_add_f64 v[56:57], v[56:57], v[68:69]
	v_add_f64 v[54:55], v[54:55], v[66:67]
	v_fma_f64 v[91:92], v[42:43], s[2:3], v[89:90]
	v_fma_f64 v[89:90], v[42:43], s[2:3], -v[89:90]
	v_fma_f64 v[104:105], v[42:43], s[8:9], v[40:41]
	v_fma_f64 v[40:41], v[42:43], s[8:9], -v[40:41]
	v_mul_f64 v[42:43], v[28:29], s[38:39]
	v_mul_f64 v[66:67], v[28:29], s[34:35]
	v_add_f64 v[91:92], v[91:92], v[113:114]
	v_add_f64 v[89:90], v[89:90], v[111:112]
	;; [unrolled: 1-line block ×4, first 2 shown]
	v_fma_f64 v[48:49], v[30:31], s[2:3], v[42:43]
	v_fma_f64 v[42:43], v[30:31], s[2:3], -v[42:43]
	v_fma_f64 v[68:69], v[30:31], s[14:15], v[66:67]
	v_fma_f64 v[66:67], v[30:31], s[14:15], -v[66:67]
	v_add_f64 v[48:49], v[48:49], v[52:53]
	v_add_f64 v[42:43], v[42:43], v[50:51]
	v_mul_f64 v[50:51], v[28:29], s[30:31]
	v_add_f64 v[66:67], v[66:67], v[89:90]
	v_add_f64 v[68:69], v[68:69], v[91:92]
	;; [unrolled: 1-line block ×4, first 2 shown]
	v_fma_f64 v[52:53], v[30:31], s[28:29], v[50:51]
	v_fma_f64 v[50:51], v[30:31], s[28:29], -v[50:51]
	v_mul_f64 v[42:43], v[20:21], s[20:21]
	v_add_f64 v[14:15], v[14:15], v[26:27]
	v_add_f64 v[12:13], v[12:13], v[24:25]
	v_add_f64 v[52:53], v[52:53], v[60:61]
	v_add_f64 v[50:51], v[50:51], v[58:59]
	v_mul_f64 v[58:59], v[28:29], s[20:21]
	v_mul_f64 v[28:29], v[28:29], s[26:27]
	v_fma_f64 v[48:49], v[22:23], s[8:9], v[42:43]
	v_fma_f64 v[42:43], v[22:23], s[8:9], -v[42:43]
	v_mul_f64 v[26:27], v[8:9], s[34:35]
	v_add_f64 v[6:7], v[6:7], v[14:15]
	v_fma_f64 v[60:61], v[30:31], s[8:9], v[58:59]
	v_fma_f64 v[58:59], v[30:31], s[8:9], -v[58:59]
	v_add_f64 v[48:49], v[48:49], v[56:57]
	v_add_f64 v[42:43], v[42:43], v[54:55]
	v_mul_f64 v[54:55], v[20:21], s[36:37]
	v_add_f64 v[60:61], v[60:61], v[87:88]
	v_add_f64 v[58:59], v[58:59], v[85:86]
	v_fma_f64 v[85:86], v[30:31], s[24:25], v[28:29]
	v_fma_f64 v[28:29], v[30:31], s[24:25], -v[28:29]
	v_mul_f64 v[30:31], v[20:21], s[40:41]
	v_fma_f64 v[56:57], v[22:23], s[28:29], v[54:55]
	v_fma_f64 v[54:55], v[22:23], s[28:29], -v[54:55]
	v_add_f64 v[85:86], v[85:86], v[104:105]
	v_add_f64 v[28:29], v[28:29], v[40:41]
	v_fma_f64 v[40:41], v[22:23], s[24:25], v[30:31]
	v_fma_f64 v[30:31], v[22:23], s[24:25], -v[30:31]
	v_add_f64 v[54:55], v[54:55], v[66:67]
	v_add_f64 v[56:57], v[56:57], v[68:69]
                                        ; implicit-def: $vgpr66_vgpr67
	v_add_f64 v[40:41], v[40:41], v[52:53]
	v_add_f64 v[30:31], v[30:31], v[50:51]
	v_mul_f64 v[50:51], v[20:21], s[38:39]
	v_mul_f64 v[20:21], v[20:21], s[16:17]
	v_fma_f64 v[52:53], v[22:23], s[2:3], v[50:51]
	v_fma_f64 v[50:51], v[22:23], s[2:3], -v[50:51]
	v_add_f64 v[52:53], v[52:53], v[60:61]
	v_add_f64 v[50:51], v[50:51], v[58:59]
	v_fma_f64 v[58:59], v[22:23], s[14:15], v[20:21]
	v_fma_f64 v[20:21], v[22:23], s[14:15], -v[20:21]
	v_mul_f64 v[22:23], v[8:9], s[6:7]
	v_add_f64 v[58:59], v[58:59], v[85:86]
	v_add_f64 v[20:21], v[20:21], v[28:29]
	v_fma_f64 v[24:25], v[10:11], s[2:3], v[22:23]
	v_fma_f64 v[22:23], v[10:11], s[2:3], -v[22:23]
	v_fma_f64 v[28:29], v[10:11], s[14:15], v[26:27]
	v_fma_f64 v[26:27], v[10:11], s[14:15], -v[26:27]
	v_add_f64 v[24:25], v[24:25], v[40:41]
	v_add_f64 v[22:23], v[22:23], v[30:31]
	v_mul_f64 v[30:31], v[8:9], s[36:37]
	v_add_f64 v[26:27], v[26:27], v[42:43]
	v_add_f64 v[28:29], v[28:29], v[48:49]
	v_fma_f64 v[40:41], v[10:11], s[28:29], v[30:31]
	v_fma_f64 v[30:31], v[10:11], s[28:29], -v[30:31]
	v_add_f64 v[42:43], v[40:41], v[52:53]
	v_mul_f64 v[40:41], v[8:9], s[20:21]
	v_mul_f64 v[8:9], v[8:9], s[22:23]
	v_add_f64 v[30:31], v[30:31], v[50:51]
	v_fma_f64 v[48:49], v[10:11], s[8:9], v[40:41]
	v_fma_f64 v[40:41], v[10:11], s[8:9], -v[40:41]
	v_add_f64 v[48:49], v[48:49], v[56:57]
	v_add_f64 v[50:51], v[40:41], v[54:55]
	v_fma_f64 v[40:41], v[10:11], s[18:19], v[8:9]
	v_fma_f64 v[8:9], v[10:11], s[18:19], -v[8:9]
	v_add_f64 v[52:53], v[40:41], v[58:59]
	v_add_f64 v[40:41], v[4:5], v[12:13]
	v_mul_f64 v[4:5], v[0:1], s[20:21]
	v_mul_f64 v[12:13], v[0:1], s[26:27]
	v_add_f64 v[8:9], v[8:9], v[20:21]
	v_mul_f64 v[20:21], v[0:1], s[16:17]
	v_fma_f64 v[10:11], v[2:3], s[8:9], v[4:5]
	v_fma_f64 v[4:5], v[2:3], s[8:9], -v[4:5]
	v_fma_f64 v[14:15], v[2:3], s[24:25], v[12:13]
	v_fma_f64 v[12:13], v[2:3], s[24:25], -v[12:13]
	v_add_f64 v[10:11], v[10:11], v[24:25]
	v_mul_f64 v[24:25], v[0:1], s[22:23]
	v_mul_f64 v[0:1], v[0:1], s[6:7]
	v_add_f64 v[4:5], v[4:5], v[22:23]
	v_add_f64 v[12:13], v[12:13], v[26:27]
	v_fma_f64 v[22:23], v[2:3], s[14:15], v[20:21]
	v_add_f64 v[14:15], v[14:15], v[28:29]
	v_fma_f64 v[20:21], v[2:3], s[14:15], -v[20:21]
	v_fma_f64 v[26:27], v[2:3], s[18:19], v[24:25]
	v_fma_f64 v[28:29], v[2:3], s[2:3], v[0:1]
	v_fma_f64 v[0:1], v[2:3], s[2:3], -v[0:1]
	v_fma_f64 v[24:25], v[2:3], s[18:19], -v[24:25]
	v_add_f64 v[22:23], v[22:23], v[42:43]
	v_add_f64 v[20:21], v[20:21], v[30:31]
	;; [unrolled: 1-line block ×6, first 2 shown]
	ds_write2_b64 v80, v[78:79], v[6:7] offset1:1
	ds_write2_b64 v80, v[10:11], v[14:15] offset0:2 offset1:3
	ds_write2_b64 v80, v[22:23], v[26:27] offset0:4 offset1:5
	;; [unrolled: 1-line block ×5, first 2 shown]
	ds_write_b64 v80, v[40:41] offset:96
	s_waitcnt lgkmcnt(0)
	s_barrier
	ds_read_b64 v[60:61], v110
	ds_read2_b64 v[4:7], v81 offset0:93 offset1:161
	ds_read2_b64 v[52:55], v82 offset0:101 offset1:186
	;; [unrolled: 1-line block ×5, first 2 shown]
	ds_read_b64 v[8:9], v109 offset:6392
	s_and_saveexec_b64 s[2:3], vcc
	s_cbranch_execz .LBB0_16
; %bb.15:
	v_add_u32_e32 v10, 0x600, v109
	ds_read2_b64 v[40:43], v10 offset0:12 offset1:233
	v_add_u32_e32 v10, 0x1400, v109
	ds_read2_b64 v[66:69], v10 offset0:6 offset1:227
.LBB0_16:
	s_or_b64 exec, exec, s[2:3]
	s_movk_i32 s6, 0x4f
	v_add_u16_e32 v20, 0x44, v98
	v_mul_lo_u16_sdwa v10, v98, s6 dst_sel:DWORD dst_unused:UNUSED_PAD src0_sel:BYTE_0 src1_sel:DWORD
	v_mul_lo_u16_sdwa v21, v20, s6 dst_sel:DWORD dst_unused:UNUSED_PAD src0_sel:BYTE_0 src1_sel:DWORD
	v_lshrrev_b16_e32 v14, 10, v10
	v_lshrrev_b16_e32 v113, 10, v21
	v_mul_lo_u16_e32 v10, 13, v14
	v_mul_lo_u16_e32 v21, 13, v113
	v_sub_u16_e32 v15, v98, v10
	v_mov_b32_e32 v104, 3
	v_sub_u16_e32 v114, v20, v21
	v_mul_u32_u24_sdwa v10, v15, v104 dst_sel:DWORD dst_unused:UNUSED_PAD src0_sel:BYTE_0 src1_sel:DWORD
	v_mul_u32_u24_sdwa v20, v114, v104 dst_sel:DWORD dst_unused:UNUSED_PAD src0_sel:BYTE_0 src1_sel:DWORD
	v_lshlrev_b32_e32 v86, 4, v10
	v_lshlrev_b32_e32 v87, 4, v20
	v_add_u32_e32 v111, 0xcc, v98
	global_load_dwordx4 v[78:81], v86, s[12:13] offset:16
	global_load_dwordx4 v[10:13], v86, s[12:13]
	global_load_dwordx4 v[20:23], v87, s[12:13] offset:32
	global_load_dwordx4 v[82:85], v87, s[12:13] offset:16
	;; [unrolled: 1-line block ×3, first 2 shown]
	global_load_dwordx4 v[28:31], v87, s[12:13]
	v_add_u16_e32 v86, 0x88, v98
	s_movk_i32 s2, 0x4ec5
	v_mul_lo_u16_sdwa v87, v86, s6 dst_sel:DWORD dst_unused:UNUSED_PAD src0_sel:BYTE_0 src1_sel:DWORD
	v_mul_u32_u24_sdwa v91, v111, s2 dst_sel:DWORD dst_unused:UNUSED_PAD src0_sel:WORD_0 src1_sel:DWORD
	v_lshrrev_b16_e32 v115, 10, v87
	v_lshrrev_b32_e32 v91, 18, v91
	v_mul_lo_u16_e32 v87, 13, v115
	v_mul_lo_u16_e32 v91, 13, v91
	v_sub_u16_e32 v128, v86, v87
	v_sub_u16_e32 v150, v111, v91
	v_mul_u32_u24_sdwa v86, v128, v104 dst_sel:DWORD dst_unused:UNUSED_PAD src0_sel:BYTE_0 src1_sel:DWORD
	v_mul_u32_u24_e32 v91, 3, v150
	v_lshlrev_b32_e32 v90, 4, v86
	v_lshlrev_b32_e32 v112, 4, v91
	global_load_dwordx4 v[86:89], v90, s[12:13] offset:16
	global_load_dwordx4 v[105:108], v90, s[12:13]
	global_load_dwordx4 v[116:119], v90, s[12:13] offset:32
	global_load_dwordx4 v[120:123], v112, s[12:13]
	s_nop 0
	global_load_dwordx4 v[90:93], v112, s[12:13] offset:16
	global_load_dwordx4 v[124:127], v112, s[12:13] offset:32
	s_movk_i32 s7, 0x1a0
	v_lshlrev_b32_e32 v112, 3, v103
	v_mad_u32_u24 v14, v14, s7, 0
	v_lshlrev_b32_sdwa v15, v104, v15 dst_sel:DWORD dst_unused:UNUSED_PAD src0_sel:DWORD src1_sel:BYTE_0
	v_mad_u32_u24 v103, v113, s7, 0
	v_lshlrev_b32_sdwa v113, v104, v114 dst_sel:DWORD dst_unused:UNUSED_PAD src0_sel:DWORD src1_sel:BYTE_0
	v_lshlrev_b32_sdwa v104, v104, v128 dst_sel:DWORD dst_unused:UNUSED_PAD src0_sel:DWORD src1_sel:BYTE_0
	v_add3_u32 v114, v14, v15, v112
	v_mad_u32_u24 v115, v115, s7, 0
	v_add3_u32 v113, v103, v113, v112
	v_add3_u32 v115, v115, v104, v112
	s_waitcnt vmcnt(0) lgkmcnt(0)
	s_barrier
	v_mul_f64 v[136:137], v[2:3], v[22:23]
	v_mul_f64 v[128:129], v[54:55], v[80:81]
	;; [unrolled: 1-line block ×10, first 2 shown]
	v_fma_f64 v[14:15], v[70:71], v[10:11], -v[14:15]
	v_fma_f64 v[103:104], v[4:5], v[10:11], v[12:13]
	v_fma_f64 v[4:5], v[34:35], v[78:79], -v[128:129]
	v_fma_f64 v[10:11], v[74:75], v[24:25], -v[130:131]
	v_fma_f64 v[0:1], v[0:1], v[24:25], v[26:27]
	v_fma_f64 v[12:13], v[72:73], v[28:29], -v[132:133]
	v_fma_f64 v[70:71], v[6:7], v[28:29], v[30:31]
	v_mul_f64 v[140:141], v[58:59], v[88:89]
	v_mul_f64 v[138:139], v[52:53], v[107:108]
	;; [unrolled: 1-line block ×10, first 2 shown]
	v_fma_f64 v[6:7], v[36:37], v[82:83], -v[134:135]
	v_fma_f64 v[24:25], v[76:77], v[20:21], -v[136:137]
	v_fma_f64 v[2:3], v[2:3], v[20:21], v[22:23]
	v_fma_f64 v[20:21], v[32:33], v[105:106], -v[138:139]
	v_fma_f64 v[22:23], v[38:39], v[86:87], -v[140:141]
	;; [unrolled: 1-line block ×6, first 2 shown]
	v_fma_f64 v[52:53], v[52:53], v[105:106], v[107:108]
	v_fma_f64 v[8:9], v[8:9], v[116:117], v[118:119]
	;; [unrolled: 1-line block ×4, first 2 shown]
	v_add_f64 v[101:102], v[94:95], -v[4:5]
	v_add_f64 v[32:33], v[14:15], -v[10:11]
	;; [unrolled: 1-line block ×12, first 2 shown]
	v_fma_f64 v[26:27], v[94:95], 2.0, -v[101:102]
	v_fma_f64 v[2:3], v[14:15], 2.0, -v[32:33]
	;; [unrolled: 1-line block ×8, first 2 shown]
	v_add_f64 v[12:13], v[101:102], -v[107:108]
	v_add_f64 v[24:25], v[0:1], -v[105:106]
	;; [unrolled: 1-line block ×8, first 2 shown]
	v_fma_f64 v[16:17], v[101:102], 2.0, -v[12:13]
	v_fma_f64 v[8:9], v[0:1], 2.0, -v[24:25]
	;; [unrolled: 1-line block ×8, first 2 shown]
	v_lshlrev_b32_e32 v94, 3, v150
	ds_write2_b64 v114, v[18:19], v[12:13] offset0:26 offset1:39
	ds_write2_b64 v114, v[101:102], v[16:17] offset1:13
	ds_write2_b64 v113, v[14:15], v[8:9] offset1:13
	ds_write2_b64 v113, v[10:11], v[24:25] offset0:26 offset1:39
	ds_write2_b64 v115, v[26:27], v[0:1] offset1:13
	ds_write2_b64 v115, v[2:3], v[4:5] offset0:26 offset1:39
	s_and_saveexec_b64 s[2:3], vcc
	s_cbranch_execz .LBB0_18
; %bb.17:
	v_mul_lo_u16_sdwa v30, v111, s6 dst_sel:DWORD dst_unused:UNUSED_PAD src0_sel:BYTE_0 src1_sel:DWORD
	v_lshrrev_b16_e32 v30, 10, v30
	v_mad_u32_u24 v30, v30, s7, 0
	v_add3_u32 v30, v30, v94, v112
	ds_write2_b64 v30, v[6:7], v[20:21] offset1:13
	ds_write2_b64 v30, v[22:23], v[28:29] offset0:26 offset1:39
.LBB0_18:
	s_or_b64 exec, exec, s[2:3]
	v_cmp_gt_u32_e64 s[2:3], 52, v98
	s_waitcnt lgkmcnt(0)
	s_barrier
	s_and_saveexec_b64 s[6:7], s[2:3]
	s_cbranch_execz .LBB0_20
; %bb.19:
	v_add_u32_e32 v0, 0x800, v109
	ds_read_b64 v[101:102], v110
	ds_read2_b64 v[16:19], v109 offset0:52 offset1:104
	ds_read2_b64 v[12:15], v109 offset0:156 offset1:208
	;; [unrolled: 1-line block ×4, first 2 shown]
	v_add_u32_e32 v0, 0xc00, v109
	v_add_u32_e32 v20, 0x1000, v109
	;; [unrolled: 1-line block ×3, first 2 shown]
	ds_read2_b64 v[0:3], v0 offset0:84 offset1:136
	ds_read2_b64 v[4:7], v20 offset0:60 offset1:112
	;; [unrolled: 1-line block ×4, first 2 shown]
.LBB0_20:
	s_or_b64 exec, exec, s[6:7]
	v_mul_f64 v[34:35], v[34:35], v[80:81]
	v_mul_f64 v[36:37], v[36:37], v[84:85]
	;; [unrolled: 1-line block ×4, first 2 shown]
	s_waitcnt lgkmcnt(0)
	s_barrier
	v_fma_f64 v[34:35], v[54:55], v[78:79], v[34:35]
	v_fma_f64 v[36:37], v[56:57], v[82:83], v[36:37]
	;; [unrolled: 1-line block ×4, first 2 shown]
	v_add_f64 v[54:55], v[60:61], -v[34:35]
	v_add_f64 v[58:59], v[48:49], -v[36:37]
	;; [unrolled: 1-line block ×3, first 2 shown]
	v_fma_f64 v[38:39], v[70:71], 2.0, -v[105:106]
	v_add_f64 v[70:71], v[40:41], -v[44:45]
	v_fma_f64 v[34:35], v[103:104], 2.0, -v[107:108]
	v_fma_f64 v[44:45], v[52:53], 2.0, -v[74:75]
	;; [unrolled: 1-line block ×6, first 2 shown]
	v_add_f64 v[36:37], v[54:55], v[32:33]
	v_fma_f64 v[74:75], v[40:41], 2.0, -v[70:71]
	v_add_f64 v[60:61], v[58:59], v[42:43]
	v_add_f64 v[56:57], v[62:63], v[46:47]
	v_add_f64 v[34:35], v[64:65], -v[34:35]
	v_add_f64 v[42:43], v[48:49], -v[38:39]
	;; [unrolled: 1-line block ×3, first 2 shown]
	v_add_f64 v[44:45], v[70:71], v[68:69]
	v_add_f64 v[50:51], v[74:75], -v[52:53]
	v_fma_f64 v[32:33], v[54:55], 2.0, -v[36:37]
	v_fma_f64 v[40:41], v[58:59], 2.0, -v[60:61]
	;; [unrolled: 1-line block ×8, first 2 shown]
	ds_write2_b64 v114, v[34:35], v[36:37] offset0:26 offset1:39
	ds_write2_b64 v114, v[105:106], v[32:33] offset1:13
	ds_write2_b64 v113, v[38:39], v[40:41] offset1:13
	ds_write2_b64 v113, v[42:43], v[60:61] offset0:26 offset1:39
	ds_write2_b64 v115, v[62:63], v[64:65] offset1:13
	ds_write2_b64 v115, v[66:67], v[56:57] offset0:26 offset1:39
	s_and_saveexec_b64 s[6:7], vcc
	s_cbranch_execz .LBB0_22
; %bb.21:
	s_movk_i32 s8, 0x4f
	v_mul_lo_u16_sdwa v46, v111, s8 dst_sel:DWORD dst_unused:UNUSED_PAD src0_sel:BYTE_0 src1_sel:DWORD
	v_lshrrev_b16_e32 v46, 10, v46
	s_movk_i32 s8, 0x1a0
	v_mad_u32_u24 v46, v46, s8, 0
	v_add3_u32 v46, v46, v94, v112
	ds_write2_b64 v46, v[58:59], v[48:49] offset1:13
	ds_write2_b64 v46, v[50:51], v[44:45] offset0:26 offset1:39
.LBB0_22:
	s_or_b64 exec, exec, s[6:7]
	s_waitcnt lgkmcnt(0)
	s_barrier
	s_and_saveexec_b64 s[6:7], s[2:3]
	s_cbranch_execz .LBB0_24
; %bb.23:
	v_add_u32_e32 v44, 0x800, v109
	ds_read_b64 v[105:106], v110
	ds_read2_b64 v[32:35], v109 offset0:52 offset1:104
	ds_read2_b64 v[36:39], v109 offset0:156 offset1:208
	;; [unrolled: 1-line block ×4, first 2 shown]
	v_add_u32_e32 v44, 0xc00, v109
	ds_read2_b64 v[64:67], v44 offset0:84 offset1:136
	v_add_u32_e32 v44, 0x1000, v109
	ds_read2_b64 v[56:59], v44 offset0:60 offset1:112
	ds_read2_b64 v[48:51], v44 offset0:164 offset1:216
	v_add_u32_e32 v44, 0x1800, v109
	ds_read2_b64 v[44:47], v44 offset0:12 offset1:64
.LBB0_24:
	s_or_b64 exec, exec, s[6:7]
	v_cmp_gt_u32_e32 vcc, 52, v98
	s_and_b64 s[0:1], s[0:1], vcc
	s_and_saveexec_b64 s[6:7], s[0:1]
	s_cbranch_execz .LBB0_26
; %bb.25:
	v_lshlrev_b32_e32 v52, 4, v98
	v_add_u32_e32 v53, 0xfffffcc0, v52
	v_cndmask_b32_e64 v103, v53, v52, s[2:3]
	v_mov_b32_e32 v104, 0
	v_lshlrev_b64 v[52:53], 4, v[103:104]
	v_mov_b32_e32 v54, s13
	v_add_co_u32_e32 v107, vcc, s12, v52
	v_addc_co_u32_e32 v108, vcc, v54, v53, vcc
	global_load_dwordx4 v[72:75], v[107:108], off offset:736
	global_load_dwordx4 v[80:83], v[107:108], off offset:720
	global_load_dwordx4 v[52:55], v[107:108], off offset:752
	global_load_dwordx4 v[92:95], v[107:108], off offset:768
	global_load_dwordx4 v[68:71], v[107:108], off offset:704
	global_load_dwordx4 v[88:91], v[107:108], off offset:688
	global_load_dwordx4 v[76:79], v[107:108], off offset:784
	global_load_dwordx4 v[84:87], v[107:108], off offset:800
	global_load_dwordx4 v[115:118], v[107:108], off offset:672
	global_load_dwordx4 v[119:122], v[107:108], off offset:816
	global_load_dwordx4 v[123:126], v[107:108], off offset:656
	global_load_dwordx4 v[131:134], v[107:108], off offset:832
	global_load_dwordx4 v[135:138], v[107:108], off offset:624
	global_load_dwordx4 v[151:154], v[107:108], off offset:640
	global_load_dwordx4 v[155:158], v[107:108], off offset:848
	global_load_dwordx4 v[145:148], v[107:108], off offset:864
	s_mov_b32 s0, 0x7faef3
	s_mov_b32 s1, 0xbfef7484
	s_mov_b32 s8, 0x370991
	s_mov_b32 s12, 0xacd6c6b4
	s_mov_b32 s9, 0x3fedd6d0
	s_mov_b32 s13, 0x3fc7851a
	s_mov_b32 s7, 0xbfc7851a
	s_mov_b32 s6, s12
	s_mov_b32 s2, 0x910ea3b9
	s_mov_b32 s20, 0x5d8e7cdc
	s_mov_b32 s3, 0xbfeb34fa
	s_mov_b32 s21, 0xbfd71e95
	s_mov_b32 s15, 0x3fd71e95
	s_mov_b32 s14, s20
	s_mov_b32 s26, 0x4363dd80
	s_mov_b32 s22, 0x75d4884
	s_mov_b32 s27, 0x3fe0d888
	s_mov_b32 s17, 0xbfe0d888
	s_mov_b32 s23, 0x3fe7a5f6
	s_mov_b32 s16, s26
	s_mov_b32 s24, 0x2a9d6da3
	s_mov_b32 s18, 0x6ed5f1bb
	s_mov_b32 s25, 0xbfe58eea
	s_mov_b32 s19, 0xbfe348c8
	s_mov_b32 s53, 0x3fe58eea
	s_mov_b32 s52, s24
	s_mov_b32 s40, 0x6c9a05f6
	s_mov_b32 s41, 0x3fe9895b
	s_mov_b32 s29, 0xbfe9895b
	s_mov_b32 s28, s40
	s_mov_b32 s34, 0x2b2883cd
	s_mov_b32 s36, 0x7c9e640b
	s_mov_b32 s35, 0x3fdc86fa
	s_mov_b32 s37, 0xbfeca52d
	s_mov_b32 s47, 0x3feca52d
	s_mov_b32 s46, s36
	s_mov_b32 s30, 0xc61f0d01
	s_mov_b32 s48, 0x923c349f
	s_mov_b32 s31, 0xbfd183b1
	s_mov_b32 s49, 0x3feec746
	s_mov_b32 s39, 0xbfeec746
	s_mov_b32 s38, s48
	s_mov_b32 s42, 0x3259b75e
	s_mov_b32 s44, 0xeb564b22
	s_mov_b32 s43, 0x3fb79ee6
	s_mov_b32 s45, 0xbfefdd0d
	s_mov_b32 s51, 0x3fefdd0d
	s_mov_b32 s50, s44
	v_mul_lo_u32 v103, s5, v99
	s_waitcnt vmcnt(15) lgkmcnt(4)
	v_mul_f64 v[107:108], v[62:63], v[72:73]
	s_waitcnt vmcnt(14)
	v_mul_f64 v[111:112], v[60:61], v[80:81]
	v_mul_f64 v[60:61], v[60:61], v[82:83]
	s_waitcnt vmcnt(13) lgkmcnt(3)
	v_mul_f64 v[127:128], v[64:65], v[52:53]
	v_mul_f64 v[62:63], v[62:63], v[74:75]
	;; [unrolled: 1-line block ×3, first 2 shown]
	s_waitcnt vmcnt(12)
	v_mul_f64 v[64:65], v[66:67], v[92:93]
	v_mul_f64 v[66:67], v[66:67], v[94:95]
	s_waitcnt vmcnt(9) lgkmcnt(2)
	v_mul_f64 v[179:180], v[56:57], v[76:77]
	s_waitcnt vmcnt(6) lgkmcnt(1)
	v_mul_f64 v[171:172], v[48:49], v[119:120]
	v_mul_f64 v[175:176], v[48:49], v[121:122]
	s_waitcnt vmcnt(4)
	v_mul_f64 v[161:162], v[50:51], v[131:132]
	s_waitcnt vmcnt(3)
	v_mul_f64 v[48:49], v[32:33], v[135:136]
	v_mul_f64 v[185:186], v[50:51], v[133:134]
	;; [unrolled: 1-line block ×3, first 2 shown]
	s_waitcnt vmcnt(0) lgkmcnt(0)
	v_mul_f64 v[149:150], v[46:47], v[145:146]
	v_mul_f64 v[50:51], v[34:35], v[151:152]
	;; [unrolled: 1-line block ×5, first 2 shown]
	v_fma_f64 v[177:178], v[16:17], v[137:138], v[48:49]
	v_mul_f64 v[56:57], v[58:59], v[84:85]
	v_mul_f64 v[169:170], v[58:59], v[86:87]
	v_fma_f64 v[48:49], v[30:31], v[147:148], v[149:150]
	v_mul_f64 v[58:59], v[38:39], v[115:116]
	v_mul_f64 v[159:160], v[36:37], v[123:124]
	v_mul_f64 v[34:35], v[34:35], v[153:154]
	v_mul_f64 v[44:45], v[44:45], v[157:158]
	v_fma_f64 v[113:114], v[24:25], v[82:83], v[111:112]
	v_fma_f64 v[111:112], v[24:25], v[80:81], -v[60:61]
	v_fma_f64 v[80:81], v[0:1], v[54:55], v[127:128]
	v_fma_f64 v[167:168], v[16:17], v[135:136], -v[32:33]
	v_fma_f64 v[163:164], v[18:19], v[153:154], v[50:51]
	v_fma_f64 v[54:55], v[28:29], v[157:158], v[165:166]
	v_fma_f64 v[50:51], v[30:31], v[145:146], -v[46:47]
	v_add_f64 v[183:184], v[177:178], v[48:49]
	v_mul_f64 v[139:140], v[40:41], v[88:89]
	v_mul_f64 v[40:41], v[40:41], v[90:91]
	;; [unrolled: 1-line block ×4, first 2 shown]
	v_fma_f64 v[109:110], v[26:27], v[74:75], v[107:108]
	v_fma_f64 v[107:108], v[26:27], v[72:73], -v[62:63]
	v_fma_f64 v[74:75], v[2:3], v[94:95], v[64:65]
	v_fma_f64 v[72:73], v[2:3], v[92:93], -v[66:67]
	v_fma_f64 v[62:63], v[6:7], v[86:87], v[56:57]
	v_fma_f64 v[149:150], v[14:15], v[117:118], v[58:59]
	v_fma_f64 v[159:160], v[12:13], v[125:126], v[159:160]
	v_fma_f64 v[58:59], v[22:23], v[133:134], v[161:162]
	v_fma_f64 v[165:166], v[18:19], v[151:152], -v[34:35]
	v_fma_f64 v[56:57], v[28:29], v[155:156], -v[44:45]
	v_add_f64 v[44:45], v[163:164], v[54:55]
	v_add_f64 v[125:126], v[167:168], -v[50:51]
	v_mul_f64 v[2:3], v[183:184], s[0:1]
	v_add_f64 v[145:146], v[177:178], -v[48:49]
	v_fma_f64 v[143:144], v[8:9], v[90:91], v[139:140]
	v_fma_f64 v[141:142], v[8:9], v[88:89], -v[40:41]
	v_fma_f64 v[147:148], v[14:15], v[115:116], -v[38:39]
	;; [unrolled: 1-line block ×4, first 2 shown]
	v_fma_f64 v[66:67], v[20:21], v[121:122], v[171:172]
	v_fma_f64 v[64:65], v[20:21], v[119:120], -v[175:176]
	v_add_f64 v[175:176], v[159:160], v[58:59]
	v_add_f64 v[90:91], v[165:166], -v[56:57]
	v_mul_f64 v[8:9], v[44:45], s[8:9]
	v_fma_f64 v[12:13], v[125:126], s[12:13], v[2:3]
	v_add_f64 v[135:136], v[163:164], -v[54:55]
	v_add_f64 v[117:118], v[167:168], v[50:51]
	v_mul_f64 v[14:15], v[145:146], s[6:7]
	v_mul_f64 v[129:130], v[42:43], v[68:69]
	v_add_f64 v[86:87], v[161:162], -v[60:61]
	v_add_f64 v[171:172], v[149:150], v[66:67]
	v_mul_f64 v[16:17], v[175:176], s[2:3]
	v_fma_f64 v[18:19], v[90:91], s[20:21], v[8:9]
	v_add_f64 v[12:13], v[105:106], v[12:13]
	v_add_f64 v[88:89], v[165:166], v[56:57]
	v_add_f64 v[131:132], v[159:160], -v[58:59]
	v_mul_f64 v[20:21], v[135:136], s[14:15]
	v_fma_f64 v[24:25], v[117:118], s[0:1], v[14:15]
	v_mul_f64 v[42:43], v[42:43], v[70:71]
	v_fma_f64 v[129:130], v[10:11], v[70:71], v[129:130]
	v_add_f64 v[82:83], v[147:148], -v[64:65]
	v_mul_f64 v[22:23], v[171:172], s[22:23]
	v_fma_f64 v[26:27], v[86:87], s[26:27], v[16:17]
	v_add_f64 v[12:13], v[18:19], v[12:13]
	v_fma_f64 v[70:71], v[6:7], v[84:85], -v[169:170]
	v_add_f64 v[84:85], v[161:162], v[60:61]
	v_add_f64 v[169:170], v[143:144], v[62:63]
	v_mul_f64 v[6:7], v[131:132], s[16:17]
	v_fma_f64 v[18:19], v[88:89], s[8:9], v[20:21]
	v_add_f64 v[24:25], v[101:102], v[24:25]
	v_add_f64 v[137:138], v[149:150], -v[66:67]
	v_fma_f64 v[28:29], v[82:83], s[24:25], v[22:23]
	v_add_f64 v[12:13], v[26:27], v[12:13]
	v_fma_f64 v[151:152], v[10:11], v[68:69], -v[42:43]
	v_add_f64 v[68:69], v[141:142], -v[70:71]
	v_mul_f64 v[10:11], v[169:170], s[18:19]
	v_fma_f64 v[78:79], v[4:5], v[78:79], v[179:180]
	v_fma_f64 v[26:27], v[84:85], s[2:3], v[6:7]
	v_add_f64 v[18:19], v[18:19], v[24:25]
	v_fma_f64 v[92:93], v[4:5], v[76:77], -v[181:182]
	v_add_f64 v[121:122], v[147:148], v[64:65]
	v_mul_f64 v[4:5], v[137:138], s[52:53]
	v_add_f64 v[133:134], v[143:144], -v[62:63]
	v_fma_f64 v[2:3], v[125:126], s[6:7], v[2:3]
	v_add_f64 v[12:13], v[28:29], v[12:13]
	v_fma_f64 v[24:25], v[68:69], s[40:41], v[10:11]
	v_add_f64 v[181:182], v[129:130], v[78:79]
	v_add_f64 v[18:19], v[26:27], v[18:19]
	;; [unrolled: 1-line block ×3, first 2 shown]
	v_fma_f64 v[26:27], v[121:122], s[22:23], v[4:5]
	v_mul_f64 v[28:29], v[133:134], s[28:29]
	v_add_f64 v[127:128], v[129:130], -v[78:79]
	v_fma_f64 v[8:9], v[90:91], s[14:15], v[8:9]
	v_add_f64 v[2:3], v[105:106], v[2:3]
	v_fma_f64 v[173:174], v[0:1], v[52:53], -v[173:174]
	v_fma_f64 v[0:1], v[117:118], s[0:1], -v[14:15]
	v_add_f64 v[12:13], v[24:25], v[12:13]
	v_mul_f64 v[24:25], v[181:182], s[34:35]
	v_add_f64 v[76:77], v[151:152], -v[92:93]
	v_add_f64 v[179:180], v[113:114], v[74:75]
	v_add_f64 v[18:19], v[26:27], v[18:19]
	v_fma_f64 v[26:27], v[115:116], s[18:19], v[28:29]
	v_add_f64 v[119:120], v[151:152], v[92:93]
	v_mul_f64 v[32:33], v[127:128], s[46:47]
	v_add_f64 v[123:124], v[113:114], -v[74:75]
	v_add_f64 v[2:3], v[8:9], v[2:3]
	v_fma_f64 v[8:9], v[88:89], s[8:9], -v[20:21]
	v_add_f64 v[0:1], v[101:102], v[0:1]
	v_fma_f64 v[30:31], v[76:77], s[36:37], v[24:25]
	v_mul_f64 v[34:35], v[179:180], s[30:31]
	v_add_f64 v[94:95], v[111:112], -v[72:73]
	v_add_f64 v[18:19], v[26:27], v[18:19]
	v_fma_f64 v[26:27], v[119:120], s[34:35], v[32:33]
	v_add_f64 v[139:140], v[111:112], v[72:73]
	v_mul_f64 v[36:37], v[123:124], s[38:39]
	v_add_f64 v[157:158], v[109:110], v[80:81]
	v_fma_f64 v[16:17], v[86:87], s[16:17], v[16:17]
	v_add_f64 v[155:156], v[109:110], -v[80:81]
	v_add_f64 v[0:1], v[8:9], v[0:1]
	v_fma_f64 v[6:7], v[84:85], s[2:3], -v[6:7]
	v_add_f64 v[12:13], v[30:31], v[12:13]
	v_fma_f64 v[14:15], v[94:95], s[48:49], v[34:35]
	v_add_f64 v[18:19], v[26:27], v[18:19]
	v_fma_f64 v[26:27], v[139:140], s[30:31], v[36:37]
	v_mul_f64 v[20:21], v[157:158], s[42:43]
	v_add_f64 v[2:3], v[16:17], v[2:3]
	v_fma_f64 v[8:9], v[82:83], s[52:53], v[22:23]
	v_add_f64 v[52:53], v[107:108], -v[173:174]
	v_add_f64 v[153:154], v[107:108], v[173:174]
	v_mul_f64 v[16:17], v[155:156], s[50:51]
	v_add_f64 v[0:1], v[6:7], v[0:1]
	v_fma_f64 v[4:5], v[121:122], s[22:23], -v[4:5]
	v_fma_f64 v[6:7], v[68:69], s[28:29], v[10:11]
	v_add_f64 v[10:11], v[26:27], v[18:19]
	v_add_f64 v[2:3], v[8:9], v[2:3]
	;; [unrolled: 1-line block ×3, first 2 shown]
	v_fma_f64 v[12:13], v[52:53], s[44:45], v[20:21]
	v_mul_f64 v[14:15], v[183:184], s[2:3]
	v_fma_f64 v[18:19], v[153:154], s[42:43], v[16:17]
	v_add_f64 v[4:5], v[4:5], v[0:1]
	v_fma_f64 v[22:23], v[115:116], s[18:19], -v[28:29]
	v_mul_f64 v[26:27], v[145:146], s[16:17]
	v_add_f64 v[6:7], v[6:7], v[2:3]
	v_fma_f64 v[24:25], v[76:77], s[46:47], v[24:25]
	v_add_f64 v[2:3], v[12:13], v[8:9]
	v_fma_f64 v[8:9], v[125:126], s[26:27], v[14:15]
	v_mul_f64 v[12:13], v[44:45], s[34:35]
	v_add_f64 v[0:1], v[18:19], v[10:11]
	v_add_f64 v[4:5], v[22:23], v[4:5]
	v_fma_f64 v[10:11], v[119:120], s[34:35], -v[32:33]
	v_fma_f64 v[18:19], v[117:118], s[2:3], v[26:27]
	v_mul_f64 v[22:23], v[135:136], s[46:47]
	v_add_f64 v[6:7], v[24:25], v[6:7]
	v_add_f64 v[8:9], v[105:106], v[8:9]
	v_fma_f64 v[24:25], v[90:91], s[36:37], v[12:13]
	v_mul_f64 v[28:29], v[175:176], s[42:43]
	v_fma_f64 v[30:31], v[94:95], s[38:39], v[34:35]
	v_add_f64 v[4:5], v[10:11], v[4:5]
	v_fma_f64 v[10:11], v[139:140], s[30:31], -v[36:37]
	v_add_f64 v[18:19], v[101:102], v[18:19]
	v_fma_f64 v[32:33], v[88:89], s[34:35], v[22:23]
	v_mul_f64 v[34:35], v[131:132], s[44:45]
	v_add_f64 v[8:9], v[24:25], v[8:9]
	v_fma_f64 v[24:25], v[86:87], s[50:51], v[28:29]
	v_mul_f64 v[36:37], v[171:172], s[18:19]
	v_add_f64 v[6:7], v[30:31], v[6:7]
	v_add_f64 v[4:5], v[10:11], v[4:5]
	v_fma_f64 v[10:11], v[52:53], s[50:51], v[20:21]
	v_add_f64 v[18:19], v[32:33], v[18:19]
	v_fma_f64 v[20:21], v[84:85], s[42:43], v[34:35]
	v_mul_f64 v[30:31], v[137:138], s[40:41]
	v_add_f64 v[8:9], v[24:25], v[8:9]
	v_fma_f64 v[24:25], v[82:83], s[28:29], v[36:37]
	v_mul_f64 v[32:33], v[169:170], s[8:9]
	v_fma_f64 v[16:17], v[153:154], s[42:43], -v[16:17]
	v_add_f64 v[6:7], v[10:11], v[6:7]
	v_fma_f64 v[10:11], v[125:126], s[16:17], v[14:15]
	v_add_f64 v[14:15], v[20:21], v[18:19]
	v_fma_f64 v[18:19], v[121:122], s[18:19], v[30:31]
	v_mul_f64 v[20:21], v[133:134], s[20:21]
	v_add_f64 v[8:9], v[24:25], v[8:9]
	v_fma_f64 v[24:25], v[68:69], s[14:15], v[32:33]
	v_mul_f64 v[38:39], v[181:182], s[0:1]
	v_fma_f64 v[12:13], v[90:91], s[46:47], v[12:13]
	v_add_f64 v[10:11], v[105:106], v[10:11]
	v_add_f64 v[4:5], v[16:17], v[4:5]
	;; [unrolled: 1-line block ×3, first 2 shown]
	v_fma_f64 v[16:17], v[115:116], s[8:9], v[20:21]
	v_mul_f64 v[18:19], v[127:128], s[6:7]
	v_fma_f64 v[26:27], v[117:118], s[2:3], -v[26:27]
	v_add_f64 v[8:9], v[24:25], v[8:9]
	v_fma_f64 v[24:25], v[76:77], s[12:13], v[38:39]
	v_add_f64 v[10:11], v[12:13], v[10:11]
	v_fma_f64 v[12:13], v[86:87], s[44:45], v[28:29]
	v_mul_f64 v[28:29], v[179:180], s[22:23]
	v_add_f64 v[14:15], v[16:17], v[14:15]
	v_fma_f64 v[16:17], v[119:120], s[0:1], v[18:19]
	v_mul_f64 v[40:41], v[123:124], s[52:53]
	v_fma_f64 v[22:23], v[88:89], s[34:35], -v[22:23]
	v_add_f64 v[26:27], v[101:102], v[26:27]
	v_add_f64 v[8:9], v[24:25], v[8:9]
	v_add_f64 v[10:11], v[12:13], v[10:11]
	v_fma_f64 v[12:13], v[82:83], s[40:41], v[36:37]
	v_fma_f64 v[24:25], v[94:95], s[24:25], v[28:29]
	v_add_f64 v[14:15], v[16:17], v[14:15]
	v_fma_f64 v[16:17], v[139:140], s[22:23], v[40:41]
	v_mul_f64 v[36:37], v[157:158], s[30:31]
	v_add_f64 v[22:23], v[22:23], v[26:27]
	v_fma_f64 v[26:27], v[84:85], s[42:43], -v[34:35]
	v_mul_f64 v[34:35], v[155:156], s[38:39]
	v_add_f64 v[10:11], v[12:13], v[10:11]
	v_fma_f64 v[12:13], v[68:69], s[20:21], v[32:33]
	v_add_f64 v[8:9], v[24:25], v[8:9]
	v_add_f64 v[14:15], v[16:17], v[14:15]
	v_fma_f64 v[16:17], v[52:53], s[48:49], v[36:37]
	v_mul_f64 v[24:25], v[183:184], s[18:19]
	v_add_f64 v[22:23], v[26:27], v[22:23]
	v_fma_f64 v[26:27], v[121:122], s[18:19], -v[30:31]
	v_fma_f64 v[30:31], v[153:154], s[30:31], v[34:35]
	v_fma_f64 v[32:33], v[76:77], s[6:7], v[38:39]
	v_mul_f64 v[38:39], v[145:146], s[28:29]
	v_add_f64 v[12:13], v[12:13], v[10:11]
	v_add_f64 v[10:11], v[16:17], v[8:9]
	v_fma_f64 v[16:17], v[125:126], s[40:41], v[24:25]
	v_mul_f64 v[42:43], v[44:45], s[30:31]
	v_add_f64 v[22:23], v[26:27], v[22:23]
	v_fma_f64 v[20:21], v[115:116], s[8:9], -v[20:21]
	v_add_f64 v[8:9], v[30:31], v[14:15]
	v_fma_f64 v[14:15], v[117:118], s[18:19], v[38:39]
	v_mul_f64 v[26:27], v[135:136], s[48:49]
	v_add_f64 v[12:13], v[32:33], v[12:13]
	v_add_f64 v[16:17], v[105:106], v[16:17]
	v_fma_f64 v[30:31], v[90:91], s[38:39], v[42:43]
	v_mul_f64 v[32:33], v[175:176], s[8:9]
	v_add_f64 v[20:21], v[20:21], v[22:23]
	v_fma_f64 v[18:19], v[119:120], s[0:1], -v[18:19]
	v_fma_f64 v[22:23], v[94:95], s[52:53], v[28:29]
	v_add_f64 v[14:15], v[101:102], v[14:15]
	v_fma_f64 v[28:29], v[88:89], s[30:31], v[26:27]
	v_mul_f64 v[46:47], v[131:132], s[20:21]
	v_add_f64 v[16:17], v[30:31], v[16:17]
	v_fma_f64 v[30:31], v[86:87], s[14:15], v[32:33]
	v_mul_f64 v[185:186], v[171:172], s[2:3]
	v_add_f64 v[18:19], v[18:19], v[20:21]
	v_fma_f64 v[20:21], v[139:140], s[22:23], -v[40:41]
	v_add_f64 v[12:13], v[22:23], v[12:13]
	v_add_f64 v[14:15], v[28:29], v[14:15]
	v_fma_f64 v[22:23], v[84:85], s[8:9], v[46:47]
	v_mul_f64 v[28:29], v[137:138], s[16:17]
	v_add_f64 v[16:17], v[30:31], v[16:17]
	v_fma_f64 v[30:31], v[82:83], s[26:27], v[185:186]
	v_mul_f64 v[40:41], v[169:170], s[42:43]
	v_add_f64 v[18:19], v[20:21], v[18:19]
	v_fma_f64 v[20:21], v[52:53], s[38:39], v[36:37]
	v_fma_f64 v[34:35], v[153:154], s[30:31], -v[34:35]
	v_add_f64 v[22:23], v[22:23], v[14:15]
	v_fma_f64 v[36:37], v[121:122], s[2:3], v[28:29]
	v_mul_f64 v[187:188], v[133:134], s[50:51]
	v_add_f64 v[16:17], v[30:31], v[16:17]
	v_fma_f64 v[30:31], v[68:69], s[44:45], v[40:41]
	v_mul_f64 v[189:190], v[181:182], s[22:23]
	v_add_f64 v[14:15], v[20:21], v[12:13]
	v_add_f64 v[12:13], v[34:35], v[18:19]
	v_fma_f64 v[18:19], v[125:126], s[28:29], v[24:25]
	v_add_f64 v[20:21], v[36:37], v[22:23]
	v_fma_f64 v[22:23], v[115:116], s[42:43], v[187:188]
	v_mul_f64 v[24:25], v[127:128], s[24:25]
	v_add_f64 v[16:17], v[30:31], v[16:17]
	v_fma_f64 v[30:31], v[76:77], s[52:53], v[189:190]
	v_fma_f64 v[34:35], v[90:91], s[48:49], v[42:43]
	v_fma_f64 v[36:37], v[117:118], s[18:19], -v[38:39]
	v_add_f64 v[18:19], v[105:106], v[18:19]
	v_mul_f64 v[38:39], v[179:180], s[0:1]
	v_add_f64 v[20:21], v[22:23], v[20:21]
	v_fma_f64 v[22:23], v[119:120], s[22:23], v[24:25]
	v_mul_f64 v[42:43], v[123:124], s[6:7]
	v_add_f64 v[16:17], v[30:31], v[16:17]
	v_fma_f64 v[26:27], v[88:89], s[30:31], -v[26:27]
	v_add_f64 v[30:31], v[101:102], v[36:37]
	v_add_f64 v[18:19], v[34:35], v[18:19]
	v_fma_f64 v[32:33], v[86:87], s[20:21], v[32:33]
	v_fma_f64 v[34:35], v[94:95], s[12:13], v[38:39]
	v_add_f64 v[20:21], v[22:23], v[20:21]
	v_fma_f64 v[22:23], v[139:140], s[0:1], v[42:43]
	v_mul_f64 v[36:37], v[157:158], s[34:35]
	v_mul_f64 v[191:192], v[155:156], s[46:47]
	v_add_f64 v[26:27], v[26:27], v[30:31]
	v_fma_f64 v[30:31], v[84:85], s[8:9], -v[46:47]
	v_add_f64 v[18:19], v[32:33], v[18:19]
	v_fma_f64 v[32:33], v[82:83], s[16:17], v[185:186]
	v_add_f64 v[16:17], v[34:35], v[16:17]
	v_add_f64 v[20:21], v[22:23], v[20:21]
	v_fma_f64 v[22:23], v[52:53], s[36:37], v[36:37]
	v_fma_f64 v[34:35], v[153:154], s[34:35], v[191:192]
	v_mul_f64 v[46:47], v[183:184], s[30:31]
	v_add_f64 v[26:27], v[30:31], v[26:27]
	v_fma_f64 v[28:29], v[121:122], s[2:3], -v[28:29]
	v_add_f64 v[30:31], v[32:33], v[18:19]
	v_fma_f64 v[32:33], v[68:69], s[50:51], v[40:41]
	v_mul_f64 v[40:41], v[145:146], s[38:39]
	v_add_f64 v[18:19], v[22:23], v[16:17]
	v_add_f64 v[16:17], v[34:35], v[20:21]
	v_fma_f64 v[20:21], v[125:126], s[48:49], v[46:47]
	v_mul_f64 v[34:35], v[44:45], s[2:3]
	v_add_f64 v[22:23], v[28:29], v[26:27]
	v_fma_f64 v[26:27], v[115:116], s[42:43], -v[187:188]
	v_add_f64 v[28:29], v[32:33], v[30:31]
	v_fma_f64 v[30:31], v[117:118], s[30:31], v[40:41]
	v_mul_f64 v[32:33], v[135:136], s[26:27]
	v_fma_f64 v[185:186], v[76:77], s[24:25], v[189:190]
	v_add_f64 v[20:21], v[105:106], v[20:21]
	v_fma_f64 v[187:188], v[90:91], s[16:17], v[34:35]
	v_mul_f64 v[189:190], v[175:176], s[22:23]
	v_add_f64 v[22:23], v[26:27], v[22:23]
	v_fma_f64 v[24:25], v[119:120], s[22:23], -v[24:25]
	v_add_f64 v[26:27], v[101:102], v[30:31]
	v_fma_f64 v[30:31], v[88:89], s[2:3], v[32:33]
	v_mul_f64 v[193:194], v[131:132], s[52:53]
	v_add_f64 v[28:29], v[185:186], v[28:29]
	v_add_f64 v[20:21], v[187:188], v[20:21]
	v_fma_f64 v[185:186], v[86:87], s[24:25], v[189:190]
	v_mul_f64 v[187:188], v[171:172], s[34:35]
	v_fma_f64 v[38:39], v[94:95], s[6:7], v[38:39]
	v_add_f64 v[22:23], v[24:25], v[22:23]
	v_add_f64 v[24:25], v[30:31], v[26:27]
	v_fma_f64 v[26:27], v[84:85], s[22:23], v[193:194]
	v_mul_f64 v[30:31], v[137:138], s[36:37]
	v_fma_f64 v[42:43], v[139:140], s[0:1], -v[42:43]
	v_add_f64 v[20:21], v[185:186], v[20:21]
	v_fma_f64 v[185:186], v[82:83], s[46:47], v[187:188]
	v_mul_f64 v[195:196], v[169:170], s[0:1]
	v_add_f64 v[28:29], v[38:39], v[28:29]
	v_fma_f64 v[36:37], v[52:53], s[46:47], v[36:37]
	v_add_f64 v[24:25], v[26:27], v[24:25]
	v_fma_f64 v[26:27], v[121:122], s[34:35], v[30:31]
	v_add_f64 v[38:39], v[42:43], v[22:23]
	v_mul_f64 v[42:43], v[133:134], s[6:7]
	v_add_f64 v[20:21], v[185:186], v[20:21]
	v_fma_f64 v[185:186], v[68:69], s[12:13], v[195:196]
	v_mul_f64 v[197:198], v[181:182], s[42:43]
	v_fma_f64 v[191:192], v[153:154], s[34:35], -v[191:192]
	v_add_f64 v[22:23], v[36:37], v[28:29]
	v_add_f64 v[24:25], v[26:27], v[24:25]
	v_fma_f64 v[26:27], v[125:126], s[38:39], v[46:47]
	v_fma_f64 v[28:29], v[115:116], s[0:1], v[42:43]
	v_mul_f64 v[36:37], v[127:128], s[50:51]
	v_add_f64 v[46:47], v[185:186], v[20:21]
	v_fma_f64 v[185:186], v[76:77], s[44:45], v[197:198]
	v_add_f64 v[20:21], v[191:192], v[38:39]
	v_mul_f64 v[38:39], v[179:180], s[8:9]
	v_fma_f64 v[34:35], v[90:91], s[26:27], v[34:35]
	v_add_f64 v[26:27], v[105:106], v[26:27]
	v_add_f64 v[24:25], v[28:29], v[24:25]
	v_fma_f64 v[28:29], v[119:120], s[42:43], v[36:37]
	v_mul_f64 v[191:192], v[123:124], s[20:21]
	v_add_f64 v[46:47], v[185:186], v[46:47]
	v_fma_f64 v[40:41], v[117:118], s[30:31], -v[40:41]
	v_fma_f64 v[185:186], v[94:95], s[14:15], v[38:39]
	v_mul_f64 v[199:200], v[157:158], s[18:19]
	v_add_f64 v[26:27], v[34:35], v[26:27]
	v_fma_f64 v[34:35], v[86:87], s[52:53], v[189:190]
	v_add_f64 v[24:25], v[28:29], v[24:25]
	v_fma_f64 v[28:29], v[139:140], s[8:9], v[191:192]
	v_fma_f64 v[32:33], v[88:89], s[2:3], -v[32:33]
	v_add_f64 v[40:41], v[101:102], v[40:41]
	v_add_f64 v[46:47], v[185:186], v[46:47]
	v_fma_f64 v[185:186], v[52:53], s[40:41], v[199:200]
	v_mul_f64 v[189:190], v[155:156], s[28:29]
	v_add_f64 v[34:35], v[34:35], v[26:27]
	v_fma_f64 v[187:188], v[82:83], s[36:37], v[187:188]
	v_add_f64 v[24:25], v[28:29], v[24:25]
	v_mul_f64 v[28:29], v[183:184], s[42:43]
	v_add_f64 v[32:33], v[32:33], v[40:41]
	v_fma_f64 v[40:41], v[84:85], s[22:23], -v[193:194]
	v_add_f64 v[26:27], v[185:186], v[46:47]
	v_fma_f64 v[46:47], v[153:154], s[18:19], v[189:190]
	v_mul_f64 v[185:186], v[145:146], s[44:45]
	v_add_f64 v[34:35], v[187:188], v[34:35]
	v_fma_f64 v[187:188], v[68:69], s[6:7], v[195:196]
	v_fma_f64 v[193:194], v[125:126], s[50:51], v[28:29]
	v_mul_f64 v[195:196], v[44:45], s[0:1]
	v_add_f64 v[32:33], v[40:41], v[32:33]
	v_fma_f64 v[30:31], v[121:122], s[34:35], -v[30:31]
	v_add_f64 v[24:25], v[46:47], v[24:25]
	v_fma_f64 v[40:41], v[117:118], s[42:43], v[185:186]
	v_mul_f64 v[46:47], v[135:136], s[6:7]
	v_add_f64 v[34:35], v[187:188], v[34:35]
	v_add_f64 v[187:188], v[105:106], v[193:194]
	v_fma_f64 v[193:194], v[90:91], s[12:13], v[195:196]
	v_mul_f64 v[201:202], v[175:176], s[30:31]
	v_add_f64 v[30:31], v[30:31], v[32:33]
	v_fma_f64 v[32:33], v[115:116], s[0:1], -v[42:43]
	v_add_f64 v[40:41], v[101:102], v[40:41]
	v_fma_f64 v[42:43], v[88:89], s[0:1], v[46:47]
	v_mul_f64 v[203:204], v[131:132], s[48:49]
	v_fma_f64 v[197:198], v[76:77], s[50:51], v[197:198]
	v_add_f64 v[187:188], v[193:194], v[187:188]
	v_fma_f64 v[193:194], v[86:87], s[38:39], v[201:202]
	v_mul_f64 v[205:206], v[171:172], s[8:9]
	v_add_f64 v[30:31], v[32:33], v[30:31]
	v_fma_f64 v[32:33], v[119:120], s[42:43], -v[36:37]
	v_add_f64 v[36:37], v[42:43], v[40:41]
	v_fma_f64 v[40:41], v[84:85], s[30:31], v[203:204]
	v_mul_f64 v[42:43], v[137:138], s[14:15]
	v_add_f64 v[34:35], v[197:198], v[34:35]
	v_add_f64 v[187:188], v[193:194], v[187:188]
	v_fma_f64 v[193:194], v[82:83], s[20:21], v[205:206]
	v_mul_f64 v[197:198], v[169:170], s[34:35]
	v_fma_f64 v[38:39], v[94:95], s[20:21], v[38:39]
	v_add_f64 v[30:31], v[32:33], v[30:31]
	v_add_f64 v[32:33], v[40:41], v[36:37]
	v_fma_f64 v[36:37], v[121:122], s[8:9], v[42:43]
	v_mul_f64 v[40:41], v[133:134], s[36:37]
	v_fma_f64 v[191:192], v[139:140], s[8:9], -v[191:192]
	v_add_f64 v[187:188], v[193:194], v[187:188]
	v_fma_f64 v[193:194], v[68:69], s[46:47], v[197:198]
	v_add_f64 v[34:35], v[38:39], v[34:35]
	v_fma_f64 v[28:29], v[125:126], s[44:45], v[28:29]
	v_mul_f64 v[38:39], v[181:182], s[2:3]
	v_add_f64 v[32:33], v[36:37], v[32:33]
	v_fma_f64 v[36:37], v[115:116], s[34:35], v[40:41]
	v_mul_f64 v[207:208], v[127:128], s[16:17]
	v_add_f64 v[191:192], v[191:192], v[30:31]
	v_add_f64 v[30:31], v[193:194], v[187:188]
	v_fma_f64 v[187:188], v[90:91], s[6:7], v[195:196]
	v_add_f64 v[28:29], v[105:106], v[28:29]
	v_fma_f64 v[193:194], v[76:77], s[26:27], v[38:39]
	v_mul_f64 v[195:196], v[179:180], s[18:19]
	v_add_f64 v[32:33], v[36:37], v[32:33]
	v_fma_f64 v[36:37], v[119:120], s[2:3], v[207:208]
	v_mul_f64 v[209:210], v[123:124], s[40:41]
	v_fma_f64 v[199:200], v[52:53], s[28:29], v[199:200]
	v_fma_f64 v[189:190], v[153:154], s[18:19], -v[189:190]
	v_add_f64 v[28:29], v[187:188], v[28:29]
	v_fma_f64 v[187:188], v[86:87], s[48:49], v[201:202]
	v_add_f64 v[193:194], v[193:194], v[30:31]
	v_fma_f64 v[201:202], v[94:95], s[28:29], v[195:196]
	;; [unrolled: 2-line block ×3, first 2 shown]
	v_add_f64 v[30:31], v[199:200], v[34:35]
	v_mul_f64 v[199:200], v[157:158], s[22:23]
	v_mul_f64 v[211:212], v[155:156], s[52:53]
	v_add_f64 v[34:35], v[187:188], v[28:29]
	v_fma_f64 v[187:188], v[82:83], s[14:15], v[205:206]
	v_add_f64 v[28:29], v[189:190], v[191:192]
	v_add_f64 v[189:190], v[201:202], v[193:194]
	;; [unrolled: 1-line block ×3, first 2 shown]
	v_fma_f64 v[36:37], v[117:118], s[42:43], -v[185:186]
	v_fma_f64 v[185:186], v[52:53], s[24:25], v[199:200]
	v_mul_f64 v[191:192], v[183:184], s[34:35]
	v_fma_f64 v[193:194], v[153:154], s[22:23], v[211:212]
	v_mul_f64 v[201:202], v[145:146], s[36:37]
	v_add_f64 v[187:188], v[187:188], v[34:35]
	v_fma_f64 v[197:198], v[68:69], s[36:37], v[197:198]
	v_fma_f64 v[46:47], v[88:89], s[0:1], -v[46:47]
	v_add_f64 v[36:37], v[101:102], v[36:37]
	v_add_f64 v[34:35], v[185:186], v[189:190]
	v_fma_f64 v[185:186], v[125:126], s[46:47], v[191:192]
	v_mul_f64 v[189:190], v[44:45], s[18:19]
	v_add_f64 v[32:33], v[193:194], v[32:33]
	v_fma_f64 v[193:194], v[117:118], s[34:35], v[201:202]
	v_mul_f64 v[205:206], v[135:136], s[28:29]
	v_add_f64 v[187:188], v[197:198], v[187:188]
	v_add_f64 v[36:37], v[46:47], v[36:37]
	v_fma_f64 v[46:47], v[84:85], s[30:31], -v[203:204]
	v_add_f64 v[185:186], v[105:106], v[185:186]
	v_fma_f64 v[197:198], v[90:91], s[40:41], v[189:190]
	v_mul_f64 v[203:204], v[175:176], s[0:1]
	v_add_f64 v[193:194], v[101:102], v[193:194]
	v_fma_f64 v[213:214], v[88:89], s[18:19], v[205:206]
	v_mul_f64 v[215:216], v[131:132], s[12:13]
	v_fma_f64 v[38:39], v[76:77], s[16:17], v[38:39]
	v_add_f64 v[36:37], v[46:47], v[36:37]
	v_fma_f64 v[42:43], v[121:122], s[8:9], -v[42:43]
	v_add_f64 v[46:47], v[197:198], v[185:186]
	v_fma_f64 v[185:186], v[86:87], s[6:7], v[203:204]
	v_mul_f64 v[197:198], v[171:172], s[30:31]
	v_add_f64 v[193:194], v[213:214], v[193:194]
	v_fma_f64 v[213:214], v[84:85], s[0:1], v[215:216]
	v_mul_f64 v[217:218], v[137:138], s[48:49]
	v_add_f64 v[38:39], v[38:39], v[187:188]
	v_add_f64 v[36:37], v[42:43], v[36:37]
	v_fma_f64 v[40:41], v[115:116], s[34:35], -v[40:41]
	v_add_f64 v[42:43], v[185:186], v[46:47]
	v_fma_f64 v[46:47], v[82:83], s[38:39], v[197:198]
	v_mul_f64 v[185:186], v[169:170], s[22:23]
	v_add_f64 v[187:188], v[213:214], v[193:194]
	v_fma_f64 v[193:194], v[121:122], s[30:31], v[217:218]
	v_mul_f64 v[213:214], v[133:134], s[52:53]
	v_fma_f64 v[195:196], v[94:95], s[40:41], v[195:196]
	v_add_f64 v[36:37], v[40:41], v[36:37]
	v_fma_f64 v[40:41], v[119:120], s[2:3], -v[207:208]
	;; [unrolled: 18-line block ×3, first 2 shown]
	v_add_f64 v[42:43], v[46:47], v[42:43]
	v_fma_f64 v[46:47], v[94:95], s[50:51], v[195:196]
	v_mul_f64 v[211:212], v[183:184], s[22:23]
	v_add_f64 v[187:188], v[193:194], v[187:188]
	v_fma_f64 v[193:194], v[139:140], s[42:43], v[209:210]
	v_mul_f64 v[221:222], v[44:45], s[42:43]
	v_fma_f64 v[205:206], v[88:89], s[18:19], -v[205:206]
	v_add_f64 v[36:37], v[40:41], v[36:37]
	v_fma_f64 v[40:41], v[90:91], s[28:29], v[189:190]
	v_add_f64 v[189:190], v[105:106], v[191:192]
	v_add_f64 v[42:43], v[46:47], v[42:43]
	v_mul_f64 v[227:228], v[175:176], s[18:19]
	v_add_f64 v[46:47], v[193:194], v[187:188]
	v_fma_f64 v[193:194], v[117:118], s[34:35], -v[201:202]
	v_fma_f64 v[201:202], v[125:126], s[52:53], v[211:212]
	v_fma_f64 v[225:226], v[90:91], s[50:51], v[221:222]
	v_mul_f64 v[229:230], v[135:136], s[44:45]
	v_add_f64 v[40:41], v[40:41], v[189:190]
	v_fma_f64 v[189:190], v[86:87], s[12:13], v[203:204]
	v_mul_f64 v[203:204], v[145:146], s[24:25]
	v_fma_f64 v[197:198], v[82:83], s[48:49], v[197:198]
	v_add_f64 v[193:194], v[101:102], v[193:194]
	v_add_f64 v[201:202], v[105:106], v[201:202]
	;; [unrolled: 1-line block ×3, first 2 shown]
	v_fma_f64 v[231:232], v[88:89], s[42:43], v[229:230]
	v_mul_f64 v[233:234], v[131:132], s[28:29]
	v_add_f64 v[40:41], v[189:190], v[40:41]
	v_fma_f64 v[189:190], v[117:118], s[22:23], v[203:204]
	v_add_f64 v[167:168], v[101:102], v[167:168]
	v_add_f64 v[193:194], v[205:206], v[193:194]
	v_fma_f64 v[205:206], v[84:85], s[0:1], -v[215:216]
	v_add_f64 v[201:202], v[225:226], v[201:202]
	v_fma_f64 v[215:216], v[86:87], s[40:41], v[227:228]
	v_mul_f64 v[225:226], v[171:172], s[0:1]
	v_add_f64 v[40:41], v[197:198], v[40:41]
	v_add_f64 v[189:190], v[101:102], v[189:190]
	v_fma_f64 v[197:198], v[121:122], s[30:31], -v[217:218]
	v_add_f64 v[163:164], v[163:164], v[177:178]
	v_add_f64 v[193:194], v[205:206], v[193:194]
	v_fma_f64 v[217:218], v[84:85], s[18:19], v[233:234]
	v_add_f64 v[201:202], v[215:216], v[201:202]
	v_fma_f64 v[205:206], v[82:83], s[12:13], v[225:226]
	v_mul_f64 v[215:216], v[169:170], s[2:3]
	v_add_f64 v[189:190], v[231:232], v[189:190]
	v_mul_f64 v[231:232], v[137:138], s[6:7]
	v_fma_f64 v[185:186], v[68:69], s[52:53], v[185:186]
	v_add_f64 v[193:194], v[197:198], v[193:194]
	v_fma_f64 v[197:198], v[115:116], s[22:23], -v[213:214]
	v_add_f64 v[165:166], v[165:166], v[167:168]
	v_add_f64 v[159:160], v[159:160], v[163:164]
	v_fma_f64 v[199:200], v[52:53], s[52:53], v[199:200]
	v_add_f64 v[201:202], v[205:206], v[201:202]
	v_fma_f64 v[205:206], v[68:69], s[16:17], v[215:216]
	v_mul_f64 v[213:214], v[181:182], s[30:31]
	v_add_f64 v[189:190], v[217:218], v[189:190]
	v_fma_f64 v[217:218], v[121:122], s[0:1], v[231:232]
	v_mul_f64 v[235:236], v[133:134], s[26:27]
	v_add_f64 v[40:41], v[185:186], v[40:41]
	v_fma_f64 v[185:186], v[76:77], s[20:21], v[207:208]
	v_add_f64 v[193:194], v[197:198], v[193:194]
	v_fma_f64 v[197:198], v[119:120], s[8:9], -v[219:220]
	v_add_f64 v[161:162], v[161:162], v[165:166]
	v_add_f64 v[149:150], v[149:150], v[159:160]
	;; [unrolled: 1-line block ×3, first 2 shown]
	v_mul_f64 v[199:200], v[157:158], s[2:3]
	v_mul_f64 v[187:188], v[155:156], s[16:17]
	v_add_f64 v[201:202], v[205:206], v[201:202]
	v_fma_f64 v[205:206], v[76:77], s[38:39], v[213:214]
	v_add_f64 v[189:190], v[217:218], v[189:190]
	v_fma_f64 v[207:208], v[115:116], s[2:3], v[235:236]
	v_mul_f64 v[217:218], v[127:128], s[48:49]
	v_add_f64 v[40:41], v[185:186], v[40:41]
	v_mul_f64 v[219:220], v[179:180], s[34:35]
	v_fma_f64 v[185:186], v[94:95], s[44:45], v[195:196]
	v_add_f64 v[193:194], v[197:198], v[193:194]
	v_fma_f64 v[195:196], v[139:140], s[42:43], -v[209:210]
	v_add_f64 v[147:148], v[147:148], v[161:162]
	v_add_f64 v[143:144], v[143:144], v[149:150]
	v_fma_f64 v[191:192], v[52:53], s[26:27], v[199:200]
	v_add_f64 v[197:198], v[205:206], v[201:202]
	v_add_f64 v[189:190], v[207:208], v[189:190]
	v_fma_f64 v[201:202], v[119:120], s[30:31], v[217:218]
	v_mul_f64 v[205:206], v[123:124], s[46:47]
	v_fma_f64 v[207:208], v[94:95], s[36:37], v[219:220]
	v_mul_f64 v[209:210], v[157:158], s[8:9]
	v_add_f64 v[185:186], v[185:186], v[40:41]
	v_add_f64 v[193:194], v[195:196], v[193:194]
	v_fma_f64 v[195:196], v[52:53], s[16:17], v[199:200]
	v_fma_f64 v[199:200], v[153:154], s[2:3], -v[187:188]
	v_add_f64 v[141:142], v[141:142], v[147:148]
	v_mul_f64 v[145:146], v[145:146], s[20:21]
	v_add_f64 v[129:130], v[129:130], v[143:144]
	v_fma_f64 v[223:224], v[153:154], s[2:3], v[187:188]
	v_add_f64 v[189:190], v[201:202], v[189:190]
	v_fma_f64 v[201:202], v[139:140], s[34:35], v[205:206]
	;; [unrolled: 2-line block ×3, first 2 shown]
	v_add_f64 v[42:43], v[191:192], v[42:43]
	v_mul_f64 v[191:192], v[155:156], s[14:15]
	v_add_f64 v[187:188], v[195:196], v[185:186]
	v_add_f64 v[185:186], v[199:200], v[193:194]
	v_fma_f64 v[193:194], v[125:126], s[24:25], v[211:212]
	v_mul_f64 v[183:184], v[183:184], s[8:9]
	v_add_f64 v[141:142], v[151:152], v[141:142]
	v_fma_f64 v[151:152], v[117:118], s[8:9], v[145:146]
	v_mul_f64 v[135:136], v[135:136], s[24:25]
	v_add_f64 v[113:114], v[113:114], v[129:130]
	v_add_f64 v[40:41], v[223:224], v[46:47]
	;; [unrolled: 1-line block ×4, first 2 shown]
	v_fma_f64 v[195:196], v[117:118], s[22:23], -v[203:204]
	v_fma_f64 v[197:198], v[153:154], s[8:9], v[191:192]
	v_mul_lo_u32 v211, s4, v100
	v_fma_f64 v[199:200], v[90:91], s[44:45], v[221:222]
	v_add_f64 v[193:194], v[105:106], v[193:194]
	v_mad_u64_u32 v[203:204], s[4:5], s4, v99, 0
	v_fma_f64 v[99:100], v[125:126], s[14:15], v[183:184]
	v_mul_f64 v[207:208], v[44:45], s[22:23]
	v_fma_f64 v[125:126], v[125:126], s[20:21], v[183:184]
	v_add_f64 v[111:112], v[111:112], v[141:142]
	v_add_f64 v[129:130], v[101:102], v[151:152]
	v_fma_f64 v[141:142], v[88:89], s[22:23], v[135:136]
	v_mul_f64 v[131:132], v[131:132], s[36:37]
	v_fma_f64 v[117:118], v[117:118], s[8:9], -v[145:146]
	v_add_f64 v[109:110], v[109:110], v[113:114]
	v_add_f64 v[44:45], v[197:198], v[189:190]
	;; [unrolled: 1-line block ×4, first 2 shown]
	v_fma_f64 v[199:200], v[90:91], s[52:53], v[207:208]
	v_fma_f64 v[90:91], v[90:91], s[24:25], v[207:208]
	v_add_f64 v[105:106], v[105:106], v[125:126]
	v_add_f64 v[107:108], v[107:108], v[111:112]
	v_fma_f64 v[201:202], v[88:89], s[42:43], -v[229:230]
	v_add_f64 v[195:196], v[101:102], v[195:196]
	v_mul_f64 v[175:176], v[175:176], s[34:35]
	v_add_f64 v[111:112], v[141:142], v[129:130]
	v_fma_f64 v[113:114], v[84:85], s[34:35], v[131:132]
	v_mul_f64 v[125:126], v[137:138], s[44:45]
	v_fma_f64 v[88:89], v[88:89], s[22:23], -v[135:136]
	v_add_f64 v[101:102], v[101:102], v[117:118]
	v_add_f64 v[80:81], v[80:81], v[109:110]
	;; [unrolled: 1-line block ×4, first 2 shown]
	v_fma_f64 v[193:194], v[86:87], s[28:29], v[227:228]
	v_add_f64 v[195:196], v[201:202], v[195:196]
	v_fma_f64 v[197:198], v[84:85], s[18:19], -v[233:234]
	v_add_f64 v[99:100], v[199:200], v[99:100]
	v_fma_f64 v[177:178], v[86:87], s[46:47], v[175:176]
	v_mul_f64 v[167:168], v[171:172], s[42:43]
	v_fma_f64 v[86:87], v[86:87], s[36:37], v[175:176]
	v_add_f64 v[107:108], v[113:114], v[111:112]
	v_fma_f64 v[109:110], v[121:122], s[42:43], v[125:126]
	v_mul_f64 v[111:112], v[133:134], s[38:39]
	v_fma_f64 v[84:85], v[84:85], s[34:35], -v[131:132]
	v_add_f64 v[88:89], v[88:89], v[101:102]
	v_add_f64 v[74:75], v[74:75], v[80:81]
	;; [unrolled: 1-line block ×4, first 2 shown]
	v_fma_f64 v[193:194], v[82:83], s[6:7], v[225:226]
	v_add_f64 v[195:196], v[197:198], v[195:196]
	v_fma_f64 v[197:198], v[121:122], s[0:1], -v[231:232]
	v_add_f64 v[99:100], v[177:178], v[99:100]
	v_fma_f64 v[163:164], v[82:83], s[50:51], v[167:168]
	v_mul_f64 v[165:166], v[169:170], s[30:31]
	v_fma_f64 v[80:81], v[82:83], s[44:45], v[167:168]
	v_add_f64 v[82:83], v[86:87], v[90:91]
	v_add_f64 v[86:87], v[109:110], v[107:108]
	v_fma_f64 v[90:91], v[115:116], s[30:31], v[111:112]
	v_fma_f64 v[101:102], v[121:122], s[42:43], -v[125:126]
	v_add_f64 v[84:85], v[84:85], v[88:89]
	v_add_f64 v[74:75], v[78:79], v[74:75]
	;; [unrolled: 1-line block ×5, first 2 shown]
	v_fma_f64 v[195:196], v[115:116], s[2:3], -v[235:236]
	v_fma_f64 v[189:190], v[68:69], s[26:27], v[215:216]
	v_add_f64 v[99:100], v[163:164], v[99:100]
	v_fma_f64 v[161:162], v[68:69], s[48:49], v[165:166]
	v_mul_f64 v[163:164], v[181:182], s[18:19]
	v_fma_f64 v[68:69], v[68:69], s[38:39], v[165:166]
	v_add_f64 v[78:79], v[80:81], v[82:83]
	v_mul_f64 v[80:81], v[127:128], s[28:29]
	v_add_f64 v[82:83], v[90:91], v[86:87]
	v_fma_f64 v[86:87], v[115:116], s[30:31], -v[111:112]
	v_add_f64 v[84:85], v[101:102], v[84:85]
	v_add_f64 v[62:63], v[62:63], v[74:75]
	;; [unrolled: 1-line block ×4, first 2 shown]
	v_fma_f64 v[159:160], v[119:120], s[30:31], -v[217:218]
	v_add_f64 v[169:170], v[189:190], v[171:172]
	v_fma_f64 v[171:172], v[76:77], s[48:49], v[213:214]
	v_fma_f64 v[147:148], v[76:77], s[40:41], v[163:164]
	;; [unrolled: 1-line block ×3, first 2 shown]
	v_add_f64 v[68:69], v[68:69], v[78:79]
	v_fma_f64 v[72:73], v[119:120], s[18:19], v[80:81]
	v_fma_f64 v[78:79], v[119:120], s[18:19], -v[80:81]
	v_add_f64 v[80:81], v[86:87], v[84:85]
	v_mul_f64 v[84:85], v[123:124], s[16:17]
	v_add_f64 v[62:63], v[66:67], v[62:63]
	v_add_f64 v[64:65], v[64:65], v[70:71]
	;; [unrolled: 1-line block ×3, first 2 shown]
	v_mul_f64 v[159:160], v[179:180], s[2:3]
	v_add_f64 v[99:100], v[161:162], v[99:100]
	v_add_f64 v[169:170], v[171:172], v[169:170]
	v_fma_f64 v[171:172], v[94:95], s[46:47], v[219:220]
	v_add_f64 v[68:69], v[76:77], v[68:69]
	v_fma_f64 v[76:77], v[139:140], s[2:3], -v[84:85]
	v_add_f64 v[78:79], v[78:79], v[80:81]
	v_add_f64 v[58:59], v[58:59], v[62:63]
	v_mul_f64 v[88:89], v[155:156], s[6:7]
	v_add_f64 v[72:73], v[72:73], v[82:83]
	v_fma_f64 v[82:83], v[139:140], s[2:3], v[84:85]
	v_add_f64 v[60:61], v[60:61], v[64:65]
	v_mul_f64 v[74:75], v[157:158], s[0:1]
	v_fma_f64 v[90:91], v[94:95], s[16:17], v[159:160]
	v_fma_f64 v[161:162], v[139:140], s[34:35], -v[205:206]
	v_add_f64 v[99:100], v[147:148], v[99:100]
	v_fma_f64 v[147:148], v[94:95], s[26:27], v[159:160]
	v_add_f64 v[143:144], v[171:172], v[169:170]
	v_fma_f64 v[66:67], v[52:53], s[14:15], v[209:210]
	v_add_f64 v[76:77], v[76:77], v[78:79]
	v_add_f64 v[78:79], v[54:55], v[58:59]
	v_fma_f64 v[62:63], v[153:154], s[0:1], v[88:89]
	v_add_f64 v[64:65], v[82:83], v[72:73]
	v_add_f64 v[80:81], v[56:57], v[60:61]
	v_fma_f64 v[70:71], v[52:53], s[12:13], v[74:75]
	v_fma_f64 v[72:73], v[52:53], s[6:7], v[74:75]
	v_add_f64 v[68:69], v[90:91], v[68:69]
	v_fma_f64 v[74:75], v[153:154], s[0:1], -v[88:89]
	v_add_f64 v[149:150], v[161:162], v[149:150]
	v_fma_f64 v[86:87], v[153:154], s[8:9], -v[191:192]
	v_add_f64 v[99:100], v[147:148], v[99:100]
	v_add3_u32 v204, v204, v211, v103
	v_add_f64 v[54:55], v[66:67], v[143:144]
	v_add_f64 v[66:67], v[48:49], v[78:79]
	v_lshlrev_b64 v[48:49], 4, v[203:204]
	v_add_f64 v[56:57], v[62:63], v[64:65]
	v_add_f64 v[64:65], v[50:51], v[80:81]
	v_mov_b32_e32 v50, s11
	v_add_co_u32_e32 v51, vcc, s10, v48
	v_add_f64 v[62:63], v[72:73], v[68:69]
	v_add_f64 v[60:61], v[74:75], v[76:77]
	v_addc_co_u32_e32 v50, vcc, v50, v49, vcc
	v_lshlrev_b64 v[48:49], 4, v[96:97]
	v_add_f64 v[52:53], v[86:87], v[149:150]
	v_add_f64 v[58:59], v[70:71], v[99:100]
	v_mov_b32_e32 v99, v104
	v_add_co_u32_e32 v51, vcc, v51, v48
	v_addc_co_u32_e32 v50, vcc, v50, v49, vcc
	v_lshlrev_b64 v[48:49], 4, v[98:99]
	s_movk_i32 s0, 0x1000
	v_add_co_u32_e32 v48, vcc, v51, v48
	v_addc_co_u32_e32 v49, vcc, v50, v49, vcc
	global_store_dwordx4 v[48:49], v[64:67], off
	global_store_dwordx4 v[48:49], v[60:63], off offset:832
	global_store_dwordx4 v[48:49], v[52:55], off offset:1664
	;; [unrolled: 1-line block ×4, first 2 shown]
	v_or_b32_e32 v103, 0x340, v98
	v_add_co_u32_e32 v36, vcc, s0, v48
	v_addc_co_u32_e32 v37, vcc, 0, v49, vcc
	s_movk_i32 s0, 0x2000
	global_store_dwordx4 v[36:37], v[28:31], off offset:64
	global_store_dwordx4 v[36:37], v[20:23], off offset:896
	;; [unrolled: 1-line block ×5, first 2 shown]
	s_nop 0
	v_add_co_u32_e32 v0, vcc, s0, v48
	v_addc_co_u32_e32 v1, vcc, 0, v49, vcc
	s_movk_i32 s0, 0x3000
	global_store_dwordx4 v[0:1], v[8:11], off offset:128
	global_store_dwordx4 v[0:1], v[16:19], off offset:960
	global_store_dwordx4 v[0:1], v[24:27], off offset:1792
	global_store_dwordx4 v[0:1], v[32:35], off offset:2624
	global_store_dwordx4 v[0:1], v[40:43], off offset:3456
	v_add_co_u32_e32 v0, vcc, s0, v48
	v_addc_co_u32_e32 v1, vcc, 0, v49, vcc
	global_store_dwordx4 v[0:1], v[44:47], off offset:192
	v_lshlrev_b64 v[0:1], 4, v[103:104]
	v_add_co_u32_e32 v0, vcc, v51, v0
	v_addc_co_u32_e32 v1, vcc, v50, v1, vcc
	global_store_dwordx4 v[0:1], v[56:59], off
.LBB0_26:
	s_endpgm
	.section	.rodata,"a",@progbits
	.p2align	6, 0x0
	.amdhsa_kernel fft_rtc_fwd_len884_factors_13_4_17_wgs_204_tpt_68_halfLds_dp_op_CI_CI_unitstride_sbrr_dirReg
		.amdhsa_group_segment_fixed_size 0
		.amdhsa_private_segment_fixed_size 0
		.amdhsa_kernarg_size 104
		.amdhsa_user_sgpr_count 6
		.amdhsa_user_sgpr_private_segment_buffer 1
		.amdhsa_user_sgpr_dispatch_ptr 0
		.amdhsa_user_sgpr_queue_ptr 0
		.amdhsa_user_sgpr_kernarg_segment_ptr 1
		.amdhsa_user_sgpr_dispatch_id 0
		.amdhsa_user_sgpr_flat_scratch_init 0
		.amdhsa_user_sgpr_private_segment_size 0
		.amdhsa_uses_dynamic_stack 0
		.amdhsa_system_sgpr_private_segment_wavefront_offset 0
		.amdhsa_system_sgpr_workgroup_id_x 1
		.amdhsa_system_sgpr_workgroup_id_y 0
		.amdhsa_system_sgpr_workgroup_id_z 0
		.amdhsa_system_sgpr_workgroup_info 0
		.amdhsa_system_vgpr_workitem_id 0
		.amdhsa_next_free_vgpr 237
		.amdhsa_next_free_sgpr 54
		.amdhsa_reserve_vcc 1
		.amdhsa_reserve_flat_scratch 0
		.amdhsa_float_round_mode_32 0
		.amdhsa_float_round_mode_16_64 0
		.amdhsa_float_denorm_mode_32 3
		.amdhsa_float_denorm_mode_16_64 3
		.amdhsa_dx10_clamp 1
		.amdhsa_ieee_mode 1
		.amdhsa_fp16_overflow 0
		.amdhsa_exception_fp_ieee_invalid_op 0
		.amdhsa_exception_fp_denorm_src 0
		.amdhsa_exception_fp_ieee_div_zero 0
		.amdhsa_exception_fp_ieee_overflow 0
		.amdhsa_exception_fp_ieee_underflow 0
		.amdhsa_exception_fp_ieee_inexact 0
		.amdhsa_exception_int_div_zero 0
	.end_amdhsa_kernel
	.text
.Lfunc_end0:
	.size	fft_rtc_fwd_len884_factors_13_4_17_wgs_204_tpt_68_halfLds_dp_op_CI_CI_unitstride_sbrr_dirReg, .Lfunc_end0-fft_rtc_fwd_len884_factors_13_4_17_wgs_204_tpt_68_halfLds_dp_op_CI_CI_unitstride_sbrr_dirReg
                                        ; -- End function
	.section	.AMDGPU.csdata,"",@progbits
; Kernel info:
; codeLenInByte = 14188
; NumSgprs: 58
; NumVgprs: 237
; ScratchSize: 0
; MemoryBound: 1
; FloatMode: 240
; IeeeMode: 1
; LDSByteSize: 0 bytes/workgroup (compile time only)
; SGPRBlocks: 7
; VGPRBlocks: 59
; NumSGPRsForWavesPerEU: 58
; NumVGPRsForWavesPerEU: 237
; Occupancy: 1
; WaveLimiterHint : 1
; COMPUTE_PGM_RSRC2:SCRATCH_EN: 0
; COMPUTE_PGM_RSRC2:USER_SGPR: 6
; COMPUTE_PGM_RSRC2:TRAP_HANDLER: 0
; COMPUTE_PGM_RSRC2:TGID_X_EN: 1
; COMPUTE_PGM_RSRC2:TGID_Y_EN: 0
; COMPUTE_PGM_RSRC2:TGID_Z_EN: 0
; COMPUTE_PGM_RSRC2:TIDIG_COMP_CNT: 0
	.type	__hip_cuid_e8a946afb10dd960,@object ; @__hip_cuid_e8a946afb10dd960
	.section	.bss,"aw",@nobits
	.globl	__hip_cuid_e8a946afb10dd960
__hip_cuid_e8a946afb10dd960:
	.byte	0                               ; 0x0
	.size	__hip_cuid_e8a946afb10dd960, 1

	.ident	"AMD clang version 19.0.0git (https://github.com/RadeonOpenCompute/llvm-project roc-6.4.0 25133 c7fe45cf4b819c5991fe208aaa96edf142730f1d)"
	.section	".note.GNU-stack","",@progbits
	.addrsig
	.addrsig_sym __hip_cuid_e8a946afb10dd960
	.amdgpu_metadata
---
amdhsa.kernels:
  - .args:
      - .actual_access:  read_only
        .address_space:  global
        .offset:         0
        .size:           8
        .value_kind:     global_buffer
      - .offset:         8
        .size:           8
        .value_kind:     by_value
      - .actual_access:  read_only
        .address_space:  global
        .offset:         16
        .size:           8
        .value_kind:     global_buffer
      - .actual_access:  read_only
        .address_space:  global
        .offset:         24
        .size:           8
        .value_kind:     global_buffer
      - .actual_access:  read_only
        .address_space:  global
        .offset:         32
        .size:           8
        .value_kind:     global_buffer
      - .offset:         40
        .size:           8
        .value_kind:     by_value
      - .actual_access:  read_only
        .address_space:  global
        .offset:         48
        .size:           8
        .value_kind:     global_buffer
      - .actual_access:  read_only
        .address_space:  global
        .offset:         56
        .size:           8
        .value_kind:     global_buffer
      - .offset:         64
        .size:           4
        .value_kind:     by_value
      - .actual_access:  read_only
        .address_space:  global
        .offset:         72
        .size:           8
        .value_kind:     global_buffer
      - .actual_access:  read_only
        .address_space:  global
        .offset:         80
        .size:           8
        .value_kind:     global_buffer
      - .actual_access:  read_only
        .address_space:  global
        .offset:         88
        .size:           8
        .value_kind:     global_buffer
      - .actual_access:  write_only
        .address_space:  global
        .offset:         96
        .size:           8
        .value_kind:     global_buffer
    .group_segment_fixed_size: 0
    .kernarg_segment_align: 8
    .kernarg_segment_size: 104
    .language:       OpenCL C
    .language_version:
      - 2
      - 0
    .max_flat_workgroup_size: 204
    .name:           fft_rtc_fwd_len884_factors_13_4_17_wgs_204_tpt_68_halfLds_dp_op_CI_CI_unitstride_sbrr_dirReg
    .private_segment_fixed_size: 0
    .sgpr_count:     58
    .sgpr_spill_count: 0
    .symbol:         fft_rtc_fwd_len884_factors_13_4_17_wgs_204_tpt_68_halfLds_dp_op_CI_CI_unitstride_sbrr_dirReg.kd
    .uniform_work_group_size: 1
    .uses_dynamic_stack: false
    .vgpr_count:     237
    .vgpr_spill_count: 0
    .wavefront_size: 64
amdhsa.target:   amdgcn-amd-amdhsa--gfx906
amdhsa.version:
  - 1
  - 2
...

	.end_amdgpu_metadata
